;; amdgpu-corpus repo=ROCm/rocFFT kind=compiled arch=gfx906 opt=O3
	.text
	.amdgcn_target "amdgcn-amd-amdhsa--gfx906"
	.amdhsa_code_object_version 6
	.protected	fft_rtc_back_len1008_factors_2_2_2_2_3_3_7_wgs_56_tpt_56_halfLds_dp_op_CI_CI_unitstride_sbrr_R2C_dirReg ; -- Begin function fft_rtc_back_len1008_factors_2_2_2_2_3_3_7_wgs_56_tpt_56_halfLds_dp_op_CI_CI_unitstride_sbrr_R2C_dirReg
	.globl	fft_rtc_back_len1008_factors_2_2_2_2_3_3_7_wgs_56_tpt_56_halfLds_dp_op_CI_CI_unitstride_sbrr_R2C_dirReg
	.p2align	8
	.type	fft_rtc_back_len1008_factors_2_2_2_2_3_3_7_wgs_56_tpt_56_halfLds_dp_op_CI_CI_unitstride_sbrr_R2C_dirReg,@function
fft_rtc_back_len1008_factors_2_2_2_2_3_3_7_wgs_56_tpt_56_halfLds_dp_op_CI_CI_unitstride_sbrr_R2C_dirReg: ; @fft_rtc_back_len1008_factors_2_2_2_2_3_3_7_wgs_56_tpt_56_halfLds_dp_op_CI_CI_unitstride_sbrr_R2C_dirReg
; %bb.0:
	s_load_dwordx4 s[8:11], s[4:5], 0x58
	s_load_dwordx4 s[12:15], s[4:5], 0x0
	;; [unrolled: 1-line block ×3, first 2 shown]
	v_mul_u32_u24_e32 v1, 0x493, v0
	v_add_u32_sdwa v5, s6, v1 dst_sel:DWORD dst_unused:UNUSED_PAD src0_sel:DWORD src1_sel:WORD_1
	v_mov_b32_e32 v3, 0
	s_waitcnt lgkmcnt(0)
	v_cmp_lt_u64_e64 s[0:1], s[14:15], 2
	v_mov_b32_e32 v1, 0
	v_mov_b32_e32 v6, v3
	s_and_b64 vcc, exec, s[0:1]
	v_mov_b32_e32 v2, 0
	s_cbranch_vccnz .LBB0_8
; %bb.1:
	s_load_dwordx2 s[0:1], s[4:5], 0x10
	s_add_u32 s2, s18, 8
	s_addc_u32 s3, s19, 0
	s_add_u32 s6, s16, 8
	v_mov_b32_e32 v1, 0
	s_addc_u32 s7, s17, 0
	v_mov_b32_e32 v2, 0
	s_waitcnt lgkmcnt(0)
	s_add_u32 s20, s0, 8
	v_mov_b32_e32 v85, v2
	s_addc_u32 s21, s1, 0
	s_mov_b64 s[22:23], 1
	v_mov_b32_e32 v84, v1
.LBB0_2:                                ; =>This Inner Loop Header: Depth=1
	s_load_dwordx2 s[24:25], s[20:21], 0x0
                                        ; implicit-def: $vgpr88_vgpr89
	s_waitcnt lgkmcnt(0)
	v_or_b32_e32 v4, s25, v6
	v_cmp_ne_u64_e32 vcc, 0, v[3:4]
	s_and_saveexec_b64 s[0:1], vcc
	s_xor_b64 s[26:27], exec, s[0:1]
	s_cbranch_execz .LBB0_4
; %bb.3:                                ;   in Loop: Header=BB0_2 Depth=1
	v_cvt_f32_u32_e32 v4, s24
	v_cvt_f32_u32_e32 v7, s25
	s_sub_u32 s0, 0, s24
	s_subb_u32 s1, 0, s25
	v_mac_f32_e32 v4, 0x4f800000, v7
	v_rcp_f32_e32 v4, v4
	v_mul_f32_e32 v4, 0x5f7ffffc, v4
	v_mul_f32_e32 v7, 0x2f800000, v4
	v_trunc_f32_e32 v7, v7
	v_mac_f32_e32 v4, 0xcf800000, v7
	v_cvt_u32_f32_e32 v7, v7
	v_cvt_u32_f32_e32 v4, v4
	v_mul_lo_u32 v8, s0, v7
	v_mul_hi_u32 v9, s0, v4
	v_mul_lo_u32 v11, s1, v4
	v_mul_lo_u32 v10, s0, v4
	v_add_u32_e32 v8, v9, v8
	v_add_u32_e32 v8, v8, v11
	v_mul_hi_u32 v9, v4, v10
	v_mul_lo_u32 v11, v4, v8
	v_mul_hi_u32 v13, v4, v8
	v_mul_hi_u32 v12, v7, v10
	v_mul_lo_u32 v10, v7, v10
	v_mul_hi_u32 v14, v7, v8
	v_add_co_u32_e32 v9, vcc, v9, v11
	v_addc_co_u32_e32 v11, vcc, 0, v13, vcc
	v_mul_lo_u32 v8, v7, v8
	v_add_co_u32_e32 v9, vcc, v9, v10
	v_addc_co_u32_e32 v9, vcc, v11, v12, vcc
	v_addc_co_u32_e32 v10, vcc, 0, v14, vcc
	v_add_co_u32_e32 v8, vcc, v9, v8
	v_addc_co_u32_e32 v9, vcc, 0, v10, vcc
	v_add_co_u32_e32 v4, vcc, v4, v8
	v_addc_co_u32_e32 v7, vcc, v7, v9, vcc
	v_mul_lo_u32 v8, s0, v7
	v_mul_hi_u32 v9, s0, v4
	v_mul_lo_u32 v10, s1, v4
	v_mul_lo_u32 v11, s0, v4
	v_add_u32_e32 v8, v9, v8
	v_add_u32_e32 v8, v8, v10
	v_mul_lo_u32 v12, v4, v8
	v_mul_hi_u32 v13, v4, v11
	v_mul_hi_u32 v14, v4, v8
	v_mul_hi_u32 v10, v7, v11
	v_mul_lo_u32 v11, v7, v11
	v_mul_hi_u32 v9, v7, v8
	v_add_co_u32_e32 v12, vcc, v13, v12
	v_addc_co_u32_e32 v13, vcc, 0, v14, vcc
	v_mul_lo_u32 v8, v7, v8
	v_add_co_u32_e32 v11, vcc, v12, v11
	v_addc_co_u32_e32 v10, vcc, v13, v10, vcc
	v_addc_co_u32_e32 v9, vcc, 0, v9, vcc
	v_add_co_u32_e32 v8, vcc, v10, v8
	v_addc_co_u32_e32 v9, vcc, 0, v9, vcc
	v_add_co_u32_e32 v4, vcc, v4, v8
	v_addc_co_u32_e32 v9, vcc, v7, v9, vcc
	v_mad_u64_u32 v[7:8], s[0:1], v5, v9, 0
	v_mul_hi_u32 v10, v5, v4
	v_add_co_u32_e32 v11, vcc, v10, v7
	v_addc_co_u32_e32 v12, vcc, 0, v8, vcc
	v_mad_u64_u32 v[7:8], s[0:1], v6, v4, 0
	v_mad_u64_u32 v[9:10], s[0:1], v6, v9, 0
	v_add_co_u32_e32 v4, vcc, v11, v7
	v_addc_co_u32_e32 v4, vcc, v12, v8, vcc
	v_addc_co_u32_e32 v7, vcc, 0, v10, vcc
	v_add_co_u32_e32 v4, vcc, v4, v9
	v_addc_co_u32_e32 v9, vcc, 0, v7, vcc
	v_mul_lo_u32 v10, s25, v4
	v_mul_lo_u32 v11, s24, v9
	v_mad_u64_u32 v[7:8], s[0:1], s24, v4, 0
	v_add3_u32 v8, v8, v11, v10
	v_sub_u32_e32 v10, v6, v8
	v_mov_b32_e32 v11, s25
	v_sub_co_u32_e32 v7, vcc, v5, v7
	v_subb_co_u32_e64 v10, s[0:1], v10, v11, vcc
	v_subrev_co_u32_e64 v11, s[0:1], s24, v7
	v_subbrev_co_u32_e64 v10, s[0:1], 0, v10, s[0:1]
	v_cmp_le_u32_e64 s[0:1], s25, v10
	v_cndmask_b32_e64 v12, 0, -1, s[0:1]
	v_cmp_le_u32_e64 s[0:1], s24, v11
	v_cndmask_b32_e64 v11, 0, -1, s[0:1]
	v_cmp_eq_u32_e64 s[0:1], s25, v10
	v_cndmask_b32_e64 v10, v12, v11, s[0:1]
	v_add_co_u32_e64 v11, s[0:1], 2, v4
	v_addc_co_u32_e64 v12, s[0:1], 0, v9, s[0:1]
	v_add_co_u32_e64 v13, s[0:1], 1, v4
	v_addc_co_u32_e64 v14, s[0:1], 0, v9, s[0:1]
	v_subb_co_u32_e32 v8, vcc, v6, v8, vcc
	v_cmp_ne_u32_e64 s[0:1], 0, v10
	v_cmp_le_u32_e32 vcc, s25, v8
	v_cndmask_b32_e64 v10, v14, v12, s[0:1]
	v_cndmask_b32_e64 v12, 0, -1, vcc
	v_cmp_le_u32_e32 vcc, s24, v7
	v_cndmask_b32_e64 v7, 0, -1, vcc
	v_cmp_eq_u32_e32 vcc, s25, v8
	v_cndmask_b32_e32 v7, v12, v7, vcc
	v_cmp_ne_u32_e32 vcc, 0, v7
	v_cndmask_b32_e64 v7, v13, v11, s[0:1]
	v_cndmask_b32_e32 v89, v9, v10, vcc
	v_cndmask_b32_e32 v88, v4, v7, vcc
.LBB0_4:                                ;   in Loop: Header=BB0_2 Depth=1
	s_andn2_saveexec_b64 s[0:1], s[26:27]
	s_cbranch_execz .LBB0_6
; %bb.5:                                ;   in Loop: Header=BB0_2 Depth=1
	v_cvt_f32_u32_e32 v4, s24
	s_sub_i32 s26, 0, s24
	v_mov_b32_e32 v89, v3
	v_rcp_iflag_f32_e32 v4, v4
	v_mul_f32_e32 v4, 0x4f7ffffe, v4
	v_cvt_u32_f32_e32 v4, v4
	v_mul_lo_u32 v7, s26, v4
	v_mul_hi_u32 v7, v4, v7
	v_add_u32_e32 v4, v4, v7
	v_mul_hi_u32 v4, v5, v4
	v_mul_lo_u32 v7, v4, s24
	v_add_u32_e32 v8, 1, v4
	v_sub_u32_e32 v7, v5, v7
	v_subrev_u32_e32 v9, s24, v7
	v_cmp_le_u32_e32 vcc, s24, v7
	v_cndmask_b32_e32 v7, v7, v9, vcc
	v_cndmask_b32_e32 v4, v4, v8, vcc
	v_add_u32_e32 v8, 1, v4
	v_cmp_le_u32_e32 vcc, s24, v7
	v_cndmask_b32_e32 v88, v4, v8, vcc
.LBB0_6:                                ;   in Loop: Header=BB0_2 Depth=1
	s_or_b64 exec, exec, s[0:1]
	v_mul_lo_u32 v4, v89, s24
	v_mul_lo_u32 v9, v88, s25
	v_mad_u64_u32 v[7:8], s[0:1], v88, s24, 0
	s_load_dwordx2 s[0:1], s[6:7], 0x0
	s_load_dwordx2 s[24:25], s[2:3], 0x0
	v_add3_u32 v4, v8, v9, v4
	v_sub_co_u32_e32 v5, vcc, v5, v7
	v_subb_co_u32_e32 v4, vcc, v6, v4, vcc
	s_waitcnt lgkmcnt(0)
	v_mul_lo_u32 v6, s0, v4
	v_mul_lo_u32 v7, s1, v5
	v_mad_u64_u32 v[1:2], s[0:1], s0, v5, v[1:2]
	v_mul_lo_u32 v4, s24, v4
	v_mul_lo_u32 v8, s25, v5
	v_mad_u64_u32 v[84:85], s[0:1], s24, v5, v[84:85]
	s_add_u32 s22, s22, 1
	s_addc_u32 s23, s23, 0
	s_add_u32 s2, s2, 8
	v_add3_u32 v85, v8, v85, v4
	s_addc_u32 s3, s3, 0
	v_mov_b32_e32 v4, s14
	s_add_u32 s6, s6, 8
	v_mov_b32_e32 v5, s15
	s_addc_u32 s7, s7, 0
	v_cmp_ge_u64_e32 vcc, s[22:23], v[4:5]
	s_add_u32 s20, s20, 8
	v_add3_u32 v2, v7, v2, v6
	s_addc_u32 s21, s21, 0
	s_cbranch_vccnz .LBB0_9
; %bb.7:                                ;   in Loop: Header=BB0_2 Depth=1
	v_mov_b32_e32 v5, v88
	v_mov_b32_e32 v6, v89
	s_branch .LBB0_2
.LBB0_8:
	v_mov_b32_e32 v85, v2
	v_mov_b32_e32 v89, v6
	;; [unrolled: 1-line block ×4, first 2 shown]
.LBB0_9:
	s_load_dwordx2 s[4:5], s[4:5], 0x28
	s_lshl_b64 s[6:7], s[14:15], 3
	s_add_u32 s2, s18, s6
	s_addc_u32 s3, s19, s7
                                        ; implicit-def: $vgpr86
                                        ; implicit-def: $vgpr90
                                        ; implicit-def: $vgpr98
                                        ; implicit-def: $vgpr97
                                        ; implicit-def: $vgpr96
                                        ; implicit-def: $vgpr95
                                        ; implicit-def: $vgpr94
                                        ; implicit-def: $vgpr93
                                        ; implicit-def: $vgpr92
	s_waitcnt lgkmcnt(0)
	v_cmp_gt_u64_e64 s[0:1], s[4:5], v[88:89]
	v_cmp_le_u64_e32 vcc, s[4:5], v[88:89]
	s_and_saveexec_b64 s[4:5], vcc
	s_xor_b64 s[4:5], exec, s[4:5]
	s_cbranch_execz .LBB0_11
; %bb.10:
	s_mov_b32 s14, 0x4924925
	v_mul_hi_u32 v1, v0, s14
	v_mul_u32_u24_e32 v1, 56, v1
	v_sub_u32_e32 v86, v0, v1
	v_add_u32_e32 v90, 56, v86
	v_add_u32_e32 v98, 0x70, v86
	;; [unrolled: 1-line block ×7, first 2 shown]
	v_or_b32_e32 v92, 0x1c0, v86
                                        ; implicit-def: $vgpr0
                                        ; implicit-def: $vgpr1_vgpr2
.LBB0_11:
	s_andn2_saveexec_b64 s[4:5], s[4:5]
	s_cbranch_execz .LBB0_13
; %bb.12:
	s_add_u32 s6, s16, s6
	s_addc_u32 s7, s17, s7
	s_load_dwordx2 s[6:7], s[6:7], 0x0
	s_mov_b32 s14, 0x4924925
	v_mul_hi_u32 v5, v0, s14
	s_waitcnt lgkmcnt(0)
	v_mul_lo_u32 v6, s7, v88
	v_mul_lo_u32 v7, s6, v89
	v_mad_u64_u32 v[3:4], s[6:7], s6, v88, 0
	v_mul_u32_u24_e32 v5, 56, v5
	v_sub_u32_e32 v86, v0, v5
	v_add3_u32 v4, v4, v7, v6
	v_lshlrev_b64 v[3:4], 4, v[3:4]
	v_mov_b32_e32 v0, s9
	v_add_co_u32_e32 v3, vcc, s8, v3
	v_addc_co_u32_e32 v4, vcc, v0, v4, vcc
	v_lshlrev_b64 v[0:1], 4, v[1:2]
	v_lshlrev_b32_e32 v76, 4, v86
	v_add_co_u32_e32 v34, vcc, v3, v0
	v_addc_co_u32_e32 v35, vcc, v4, v1, vcc
	v_add_co_u32_e32 v44, vcc, v34, v76
	v_addc_co_u32_e32 v45, vcc, 0, v35, vcc
	s_movk_i32 s6, 0x1000
	v_add_co_u32_e32 v46, vcc, s6, v44
	v_or_b32_e32 v92, 0x1c0, v86
	v_addc_co_u32_e32 v47, vcc, 0, v45, vcc
	v_lshlrev_b32_e32 v24, 4, v92
	v_add_co_u32_e32 v32, vcc, v34, v24
	v_addc_co_u32_e32 v33, vcc, 0, v35, vcc
	global_load_dwordx4 v[0:3], v[44:45], off
	global_load_dwordx4 v[4:7], v[44:45], off offset:896
	global_load_dwordx4 v[8:11], v[44:45], off offset:1792
	;; [unrolled: 1-line block ×5, first 2 shown]
	global_load_dwordx4 v[24:27], v[32:33], off
	global_load_dwordx4 v[28:31], v[46:47], off offset:3968
	v_or_b32_e32 v32, 0x3800, v76
	v_add_co_u32_e32 v48, vcc, v34, v32
	v_addc_co_u32_e32 v49, vcc, 0, v35, vcc
	s_movk_i32 s6, 0x3000
	v_add_co_u32_e32 v72, vcc, s6, v44
	v_addc_co_u32_e32 v73, vcc, 0, v45, vcc
	s_movk_i32 s6, 0x2000
	v_add_co_u32_e32 v74, vcc, s6, v44
	v_addc_co_u32_e32 v75, vcc, 0, v45, vcc
	global_load_dwordx4 v[32:35], v[48:49], off
	global_load_dwordx4 v[36:39], v[46:47], off offset:1280
	global_load_dwordx4 v[40:43], v[46:47], off offset:2176
	s_nop 0
	global_load_dwordx4 v[44:47], v[74:75], off offset:768
	global_load_dwordx4 v[48:51], v[74:75], off offset:1664
	;; [unrolled: 1-line block ×7, first 2 shown]
	v_add_u32_e32 v90, 56, v86
	v_add_u32_e32 v98, 0x70, v86
	;; [unrolled: 1-line block ×8, first 2 shown]
	s_waitcnt vmcnt(17)
	ds_write_b128 v72, v[0:3]
	s_waitcnt vmcnt(16)
	ds_write_b128 v72, v[4:7] offset:896
	s_waitcnt vmcnt(15)
	ds_write_b128 v72, v[8:11] offset:1792
	s_waitcnt vmcnt(14)
	ds_write_b128 v72, v[12:15] offset:2688
	s_waitcnt vmcnt(13)
	ds_write_b128 v72, v[16:19] offset:3584
	s_waitcnt vmcnt(11)
	ds_write_b128 v72, v[24:27] offset:7168
	s_waitcnt vmcnt(9)
	ds_write_b128 v72, v[32:35] offset:14336
	ds_write_b128 v72, v[20:23] offset:4480
	s_waitcnt vmcnt(8)
	ds_write_b128 v72, v[36:39] offset:5376
	s_waitcnt vmcnt(7)
	ds_write_b128 v72, v[40:43] offset:6272
	ds_write_b128 v72, v[28:31] offset:8064
	s_waitcnt vmcnt(6)
	ds_write_b128 v72, v[44:47] offset:8960
	s_waitcnt vmcnt(5)
	;; [unrolled: 2-line block ×7, first 2 shown]
	ds_write_b128 v72, v[68:71] offset:15232
.LBB0_13:
	s_or_b64 exec, exec, s[4:5]
	v_lshlrev_b32_e32 v87, 4, v86
	v_add_u32_e32 v103, 0, v87
	s_load_dwordx2 s[4:5], s[2:3], 0x0
	s_waitcnt lgkmcnt(0)
	; wave barrier
	s_waitcnt lgkmcnt(0)
	ds_read_b128 v[0:3], v103 offset:8064
	ds_read_b128 v[4:7], v103
	ds_read_b128 v[8:11], v103 offset:896
	ds_read_b128 v[12:15], v103 offset:7168
	;; [unrolled: 1-line block ×4, first 2 shown]
	v_add_u32_e32 v72, v103, v87
	s_waitcnt lgkmcnt(4)
	v_add_f64 v[0:1], v[4:5], -v[0:1]
	v_add_f64 v[2:3], v[6:7], -v[2:3]
	s_waitcnt lgkmcnt(1)
	v_add_f64 v[16:17], v[8:9], -v[16:17]
	v_add_f64 v[18:19], v[10:11], -v[18:19]
	ds_read_b128 v[24:27], v103 offset:1792
	ds_read_b128 v[28:31], v103 offset:2688
	;; [unrolled: 1-line block ×12, first 2 shown]
	s_waitcnt lgkmcnt(0)
	; wave barrier
	s_waitcnt lgkmcnt(0)
	v_fma_f64 v[4:5], v[4:5], 2.0, -v[0:1]
	v_fma_f64 v[6:7], v[6:7], 2.0, -v[2:3]
	v_and_b32_e32 v114, 1, v86
	v_lshl_add_u32 v107, v97, 5, 0
	v_lshl_add_u32 v106, v96, 5, 0
	ds_write_b128 v72, v[4:7]
	ds_write_b128 v72, v[0:3] offset:16
	v_fma_f64 v[0:1], v[8:9], 2.0, -v[16:17]
	v_fma_f64 v[2:3], v[10:11], 2.0, -v[18:19]
	v_add_f64 v[4:5], v[24:25], -v[20:21]
	v_add_f64 v[6:7], v[26:27], -v[22:23]
	v_add_f64 v[8:9], v[28:29], -v[32:33]
	v_add_f64 v[10:11], v[30:31], -v[34:35]
	v_add_f64 v[20:21], v[40:41], -v[36:37]
	v_add_f64 v[22:23], v[42:43], -v[38:39]
	v_lshl_add_u32 v72, v90, 5, 0
	ds_write_b128 v72, v[0:3]
	ds_write_b128 v72, v[16:19] offset:16
	v_fma_f64 v[0:1], v[24:25], 2.0, -v[4:5]
	v_fma_f64 v[2:3], v[26:27], 2.0, -v[6:7]
	;; [unrolled: 1-line block ×6, first 2 shown]
	v_add_f64 v[32:33], v[44:45], -v[48:49]
	v_add_f64 v[34:35], v[46:47], -v[50:51]
	;; [unrolled: 1-line block ×8, first 2 shown]
	v_fma_f64 v[44:45], v[44:45], 2.0, -v[32:33]
	v_fma_f64 v[46:47], v[46:47], 2.0, -v[34:35]
	;; [unrolled: 1-line block ×8, first 2 shown]
	v_lshl_add_u32 v16, v98, 5, 0
	ds_write_b128 v16, v[0:3]
	ds_write_b128 v16, v[4:7] offset:16
	v_lshl_add_u32 v105, v95, 5, 0
	v_lshl_add_u32 v104, v94, 5, 0
	;; [unrolled: 1-line block ×4, first 2 shown]
	v_lshlrev_b32_e32 v0, 4, v114
	ds_write_b128 v107, v[24:27]
	ds_write_b128 v107, v[8:11] offset:16
	ds_write_b128 v106, v[28:31]
	ds_write_b128 v106, v[20:23] offset:16
	;; [unrolled: 2-line block ×6, first 2 shown]
	s_waitcnt lgkmcnt(0)
	; wave barrier
	s_waitcnt lgkmcnt(0)
	global_load_dwordx4 v[0:3], v0, s[12:13]
	ds_read_b128 v[4:7], v103 offset:8064
	ds_read_b128 v[8:11], v103 offset:8960
	;; [unrolled: 1-line block ×5, first 2 shown]
	ds_read_b128 v[25:28], v103
	v_lshl_add_u32 v108, v90, 4, 0
	v_lshlrev_b32_e32 v109, 4, v97
	v_lshlrev_b32_e32 v110, 4, v96
	;; [unrolled: 1-line block ×6, first 2 shown]
	s_movk_i32 s2, 0x7c
	s_movk_i32 s3, 0x2fc
	v_and_b32_e32 v122, 3, v86
	v_and_b32_e32 v124, 15, v90
	;; [unrolled: 1-line block ×4, first 2 shown]
	s_mov_b32 s7, 0x3febb67a
	v_cmp_gt_u32_e32 vcc, 48, v86
	s_movk_i32 s8, 0xab
	s_waitcnt vmcnt(0) lgkmcnt(5)
	v_mul_f64 v[29:30], v[6:7], v[2:3]
	v_mul_f64 v[31:32], v[4:5], v[2:3]
	s_waitcnt lgkmcnt(4)
	v_mul_f64 v[33:34], v[10:11], v[2:3]
	v_mul_f64 v[35:36], v[8:9], v[2:3]
	s_waitcnt lgkmcnt(3)
	;; [unrolled: 3-line block ×3, first 2 shown]
	v_mul_f64 v[41:42], v[19:20], v[2:3]
	v_mul_f64 v[43:44], v[17:18], v[2:3]
	v_fma_f64 v[29:30], v[4:5], v[0:1], v[29:30]
	v_fma_f64 v[31:32], v[6:7], v[0:1], -v[31:32]
	ds_read_b128 v[4:7], v103 offset:12544
	v_fma_f64 v[54:55], v[8:9], v[0:1], v[33:34]
	v_fma_f64 v[56:57], v[10:11], v[0:1], -v[35:36]
	ds_read_b128 v[8:11], v103 offset:13440
	v_fma_f64 v[58:59], v[12:13], v[0:1], v[37:38]
	s_waitcnt lgkmcnt(1)
	v_mul_f64 v[45:46], v[6:7], v[2:3]
	v_mul_f64 v[37:38], v[4:5], v[2:3]
	;; [unrolled: 1-line block ×4, first 2 shown]
	v_fma_f64 v[60:61], v[14:15], v[0:1], -v[39:40]
	ds_read_b128 v[12:15], v103 offset:14336
	v_fma_f64 v[62:63], v[17:18], v[0:1], v[41:42]
	v_fma_f64 v[64:65], v[19:20], v[0:1], -v[43:44]
	v_fma_f64 v[70:71], v[4:5], v[0:1], v[45:46]
	v_fma_f64 v[72:73], v[6:7], v[0:1], -v[37:38]
	ds_read_b128 v[4:7], v103 offset:15232
	v_fma_f64 v[66:67], v[21:22], v[0:1], v[33:34]
	v_fma_f64 v[68:69], v[23:24], v[0:1], -v[35:36]
	s_waitcnt lgkmcnt(2)
	v_mul_f64 v[22:23], v[10:11], v[2:3]
	v_mul_f64 v[33:34], v[8:9], v[2:3]
	s_waitcnt lgkmcnt(1)
	v_mul_f64 v[35:36], v[14:15], v[2:3]
	v_mul_f64 v[37:38], v[12:13], v[2:3]
	;; [unrolled: 3-line block ×3, first 2 shown]
	v_add_f64 v[18:19], v[25:26], -v[29:30]
	v_add_f64 v[20:21], v[27:28], -v[31:32]
	v_lshlrev_b32_e32 v17, 4, v98
	v_fma_f64 v[74:75], v[8:9], v[0:1], v[22:23]
	v_fma_f64 v[76:77], v[10:11], v[0:1], -v[33:34]
	v_fma_f64 v[78:79], v[12:13], v[0:1], v[35:36]
	v_fma_f64 v[80:81], v[14:15], v[0:1], -v[37:38]
	;; [unrolled: 2-line block ×3, first 2 shown]
	v_fma_f64 v[10:11], v[25:26], 2.0, -v[18:19]
	v_fma_f64 v[12:13], v[27:28], 2.0, -v[20:21]
	v_sub_u32_e32 v0, v16, v17
	v_sub_u32_e32 v1, v107, v109
	v_sub_u32_e32 v2, v106, v110
	v_sub_u32_e32 v3, v105, v111
	v_sub_u32_e32 v4, v104, v112
	v_sub_u32_e32 v7, v102, v113
	v_sub_u32_e32 v9, v101, v91
	ds_read_b128 v[22:25], v108
	ds_read_b128 v[26:29], v0
	;; [unrolled: 1-line block ×8, first 2 shown]
	s_waitcnt lgkmcnt(7)
	v_add_f64 v[54:55], v[22:23], -v[54:55]
	v_add_f64 v[56:57], v[24:25], -v[56:57]
	v_lshlrev_b32_e32 v8, 1, v86
	v_and_or_b32 v5, v8, s2, v114
	v_lshl_add_u32 v5, v5, 4, 0
	s_waitcnt lgkmcnt(0)
	; wave barrier
	s_waitcnt lgkmcnt(0)
	ds_write_b128 v5, v[10:13]
	v_fma_f64 v[10:11], v[22:23], 2.0, -v[54:55]
	v_fma_f64 v[12:13], v[24:25], 2.0, -v[56:57]
	ds_write_b128 v5, v[18:21] offset:32
	s_movk_i32 s2, 0xfc
	v_lshlrev_b32_e32 v5, 1, v90
	v_and_or_b32 v6, v5, s2, v114
	v_lshl_add_u32 v6, v6, 4, 0
	v_add_f64 v[18:19], v[26:27], -v[58:59]
	v_add_f64 v[20:21], v[28:29], -v[60:61]
	ds_write_b128 v6, v[10:13]
	ds_write_b128 v6, v[54:57] offset:32
	v_add_f64 v[12:13], v[30:31], -v[62:63]
	v_add_f64 v[14:15], v[32:33], -v[64:65]
	s_movk_i32 s2, 0x1fc
	v_lshlrev_b32_e32 v10, 1, v98
	v_and_or_b32 v6, v10, s2, v114
	v_fma_f64 v[22:23], v[26:27], 2.0, -v[18:19]
	v_fma_f64 v[24:25], v[28:29], 2.0, -v[20:21]
	v_lshl_add_u32 v6, v6, 4, 0
	v_fma_f64 v[26:27], v[30:31], 2.0, -v[12:13]
	v_fma_f64 v[28:29], v[32:33], 2.0, -v[14:15]
	v_add_f64 v[30:31], v[34:35], -v[66:67]
	v_add_f64 v[32:33], v[36:37], -v[68:69]
	ds_write_b128 v6, v[22:25]
	ds_write_b128 v6, v[18:21] offset:32
	v_add_f64 v[22:23], v[38:39], -v[70:71]
	v_add_f64 v[24:25], v[40:41], -v[72:73]
	v_lshlrev_b32_e32 v11, 1, v97
	v_fma_f64 v[18:19], v[34:35], 2.0, -v[30:31]
	v_fma_f64 v[20:21], v[36:37], 2.0, -v[32:33]
	v_and_or_b32 v6, v11, s2, v114
	v_lshl_add_u32 v6, v6, 4, 0
	ds_write_b128 v6, v[12:15] offset:32
	s_movk_i32 s2, 0x3fc
	v_lshlrev_b32_e32 v12, 1, v96
	ds_write_b128 v6, v[26:29]
	v_and_or_b32 v6, v12, s2, v114
	v_lshl_add_u32 v6, v6, 4, 0
	ds_write_b128 v6, v[18:21]
	v_fma_f64 v[18:19], v[38:39], 2.0, -v[22:23]
	v_fma_f64 v[20:21], v[40:41], 2.0, -v[24:25]
	v_add_f64 v[26:27], v[42:43], -v[74:75]
	v_add_f64 v[28:29], v[44:45], -v[76:77]
	v_lshlrev_b32_e32 v13, 1, v95
	ds_write_b128 v6, v[30:33] offset:32
	v_and_or_b32 v6, v13, s3, v114
	v_lshl_add_u32 v6, v6, 4, 0
	ds_write_b128 v6, v[18:21]
	ds_write_b128 v6, v[22:25] offset:32
	v_add_f64 v[22:23], v[46:47], -v[78:79]
	v_add_f64 v[24:25], v[48:49], -v[80:81]
	v_fma_f64 v[18:19], v[42:43], 2.0, -v[26:27]
	v_fma_f64 v[20:21], v[44:45], 2.0, -v[28:29]
	v_add_f64 v[30:31], v[50:51], -v[82:83]
	v_add_f64 v[32:33], v[52:53], -v[99:100]
	v_lshlrev_b32_e32 v6, 1, v94
	v_and_or_b32 v14, v6, s2, v114
	v_fma_f64 v[34:35], v[46:47], 2.0, -v[22:23]
	v_fma_f64 v[36:37], v[48:49], 2.0, -v[24:25]
	v_lshl_add_u32 v14, v14, 4, 0
	ds_write_b128 v14, v[18:21]
	ds_write_b128 v14, v[26:29] offset:32
	v_fma_f64 v[18:19], v[50:51], 2.0, -v[30:31]
	v_fma_f64 v[20:21], v[52:53], 2.0, -v[32:33]
	v_lshlrev_b32_e32 v14, 1, v93
	v_and_or_b32 v15, v14, s2, v114
	v_lshl_add_u32 v15, v15, 4, 0
	ds_write_b128 v15, v[34:37]
	ds_write_b128 v15, v[22:25] offset:32
	v_lshlrev_b32_e32 v15, 1, v92
	v_and_or_b32 v22, v15, s2, v114
	v_lshl_add_u32 v22, v22, 4, 0
	ds_write_b128 v22, v[18:21]
	ds_write_b128 v22, v[30:33] offset:32
	v_lshlrev_b32_e32 v18, 4, v122
	s_waitcnt lgkmcnt(0)
	; wave barrier
	s_waitcnt lgkmcnt(0)
	global_load_dwordx4 v[18:21], v18, s[12:13] offset:32
	ds_read_b128 v[22:25], v103 offset:8064
	ds_read_b128 v[26:29], v103 offset:8960
	ds_read_b128 v[30:33], v103
	ds_read_b128 v[34:37], v103 offset:9856
	s_movk_i32 s2, 0x78
	s_movk_i32 s3, 0x2f8
	v_sub_u32_e32 v17, 0, v17
	s_waitcnt vmcnt(0) lgkmcnt(3)
	v_mul_f64 v[38:39], v[24:25], v[20:21]
	v_mul_f64 v[40:41], v[22:23], v[20:21]
	s_waitcnt lgkmcnt(2)
	v_mul_f64 v[42:43], v[28:29], v[20:21]
	v_mul_f64 v[44:45], v[26:27], v[20:21]
	v_fma_f64 v[46:47], v[22:23], v[18:19], v[38:39]
	v_fma_f64 v[48:49], v[24:25], v[18:19], -v[40:41]
	ds_read_b128 v[22:25], v103 offset:10752
	v_fma_f64 v[50:51], v[26:27], v[18:19], v[42:43]
	v_fma_f64 v[52:53], v[28:29], v[18:19], -v[44:45]
	ds_read_b128 v[26:29], v103 offset:11648
	ds_read_b128 v[38:41], v103 offset:12544
	s_waitcnt lgkmcnt(3)
	v_mul_f64 v[54:55], v[36:37], v[20:21]
	s_waitcnt lgkmcnt(2)
	v_mul_f64 v[58:59], v[24:25], v[20:21]
	v_mul_f64 v[60:61], v[22:23], v[20:21]
	s_waitcnt lgkmcnt(1)
	v_mul_f64 v[62:63], v[28:29], v[20:21]
	v_mul_f64 v[64:65], v[26:27], v[20:21]
	;; [unrolled: 1-line block ×3, first 2 shown]
	s_waitcnt lgkmcnt(0)
	v_mul_f64 v[66:67], v[40:41], v[20:21]
	ds_read_b128 v[42:45], v103 offset:13440
	v_fma_f64 v[68:69], v[34:35], v[18:19], v[54:55]
	v_mul_f64 v[34:35], v[38:39], v[20:21]
	v_fma_f64 v[72:73], v[22:23], v[18:19], v[58:59]
	v_fma_f64 v[74:75], v[24:25], v[18:19], -v[60:61]
	ds_read_b128 v[22:25], v103 offset:14336
	v_fma_f64 v[76:77], v[26:27], v[18:19], v[62:63]
	v_fma_f64 v[78:79], v[28:29], v[18:19], -v[64:65]
	ds_read_b128 v[26:29], v103 offset:15232
	v_fma_f64 v[70:71], v[36:37], v[18:19], -v[56:57]
	v_fma_f64 v[66:67], v[38:39], v[18:19], v[66:67]
	v_fma_f64 v[80:81], v[40:41], v[18:19], -v[34:35]
	s_waitcnt lgkmcnt(2)
	v_mul_f64 v[38:39], v[44:45], v[20:21]
	v_mul_f64 v[40:41], v[42:43], v[20:21]
	s_waitcnt lgkmcnt(1)
	v_mul_f64 v[54:55], v[24:25], v[20:21]
	v_mul_f64 v[56:57], v[22:23], v[20:21]
	s_waitcnt lgkmcnt(0)
	v_mul_f64 v[58:59], v[28:29], v[20:21]
	v_mul_f64 v[20:21], v[26:27], v[20:21]
	v_add_f64 v[34:35], v[30:31], -v[46:47]
	v_add_f64 v[36:37], v[32:33], -v[48:49]
	v_fma_f64 v[82:83], v[42:43], v[18:19], v[38:39]
	v_fma_f64 v[99:100], v[44:45], v[18:19], -v[40:41]
	v_fma_f64 v[114:115], v[22:23], v[18:19], v[54:55]
	v_fma_f64 v[116:117], v[24:25], v[18:19], -v[56:57]
	;; [unrolled: 2-line block ×3, first 2 shown]
	v_fma_f64 v[18:19], v[30:31], 2.0, -v[34:35]
	v_fma_f64 v[20:21], v[32:33], 2.0, -v[36:37]
	ds_read_b128 v[22:25], v108
	ds_read_b128 v[26:29], v0
	;; [unrolled: 1-line block ×6, first 2 shown]
	s_waitcnt lgkmcnt(5)
	v_add_f64 v[50:51], v[22:23], -v[50:51]
	v_add_f64 v[52:53], v[24:25], -v[52:53]
	v_and_or_b32 v62, v8, s2, v122
	v_lshl_add_u32 v123, v62, 4, 0
	s_waitcnt lgkmcnt(4)
	v_add_f64 v[62:63], v[26:27], -v[68:69]
	v_add_f64 v[64:65], v[28:29], -v[70:71]
	s_movk_i32 s2, 0xf8
	ds_read_b128 v[54:57], v7
	ds_read_b128 v[58:61], v9
	v_fma_f64 v[22:23], v[22:23], 2.0, -v[50:51]
	v_fma_f64 v[24:25], v[24:25], 2.0, -v[52:53]
	s_waitcnt lgkmcnt(0)
	; wave barrier
	s_waitcnt lgkmcnt(0)
	ds_write_b128 v123, v[18:21]
	ds_write_b128 v123, v[34:37] offset:64
	v_and_or_b32 v18, v5, s2, v122
	v_lshl_add_u32 v34, v18, 4, 0
	v_fma_f64 v[18:19], v[26:27], 2.0, -v[62:63]
	v_fma_f64 v[20:21], v[28:29], 2.0, -v[64:65]
	ds_write_b128 v34, v[22:25]
	v_add_f64 v[22:23], v[30:31], -v[72:73]
	v_add_f64 v[24:25], v[32:33], -v[74:75]
	s_movk_i32 s2, 0x1f8
	v_and_or_b32 v26, v10, s2, v122
	ds_write_b128 v34, v[50:53] offset:64
	v_lshl_add_u32 v34, v26, 4, 0
	v_add_f64 v[26:27], v[38:39], -v[76:77]
	v_add_f64 v[28:29], v[40:41], -v[78:79]
	ds_write_b128 v34, v[18:21]
	v_fma_f64 v[18:19], v[30:31], 2.0, -v[22:23]
	v_fma_f64 v[20:21], v[32:33], 2.0, -v[24:25]
	ds_write_b128 v34, v[62:65] offset:64
	v_add_f64 v[34:35], v[42:43], -v[66:67]
	v_add_f64 v[36:37], v[44:45], -v[80:81]
	v_and_or_b32 v30, v11, s2, v122
	v_lshl_add_u32 v50, v30, 4, 0
	v_fma_f64 v[30:31], v[38:39], 2.0, -v[26:27]
	v_fma_f64 v[32:33], v[40:41], 2.0, -v[28:29]
	s_movk_i32 s2, 0x3f8
	ds_write_b128 v50, v[18:21]
	ds_write_b128 v50, v[22:25] offset:64
	v_and_or_b32 v18, v12, s2, v122
	v_lshl_add_u32 v22, v18, 4, 0
	v_fma_f64 v[18:19], v[42:43], 2.0, -v[34:35]
	v_fma_f64 v[20:21], v[44:45], 2.0, -v[36:37]
	ds_write_b128 v22, v[30:33]
	ds_write_b128 v22, v[26:29] offset:64
	v_add_f64 v[22:23], v[46:47], -v[82:83]
	v_add_f64 v[24:25], v[48:49], -v[99:100]
	v_and_or_b32 v26, v13, s3, v122
	v_lshl_add_u32 v38, v26, 4, 0
	v_add_f64 v[30:31], v[58:59], -v[118:119]
	ds_write_b128 v38, v[18:21]
	v_add_f64 v[18:19], v[54:55], -v[114:115]
	v_add_f64 v[20:21], v[56:57], -v[116:117]
	v_fma_f64 v[26:27], v[46:47], 2.0, -v[22:23]
	v_fma_f64 v[28:29], v[48:49], 2.0, -v[24:25]
	v_add_f64 v[32:33], v[60:61], -v[120:121]
	ds_write_b128 v38, v[34:37] offset:64
	v_and_or_b32 v38, v6, s2, v122
	v_lshl_add_u32 v38, v38, 4, 0
	v_fma_f64 v[34:35], v[54:55], 2.0, -v[18:19]
	v_fma_f64 v[36:37], v[56:57], 2.0, -v[20:21]
	ds_write_b128 v38, v[22:25] offset:64
	ds_write_b128 v38, v[26:29]
	v_fma_f64 v[26:27], v[58:59], 2.0, -v[30:31]
	v_fma_f64 v[28:29], v[60:61], 2.0, -v[32:33]
	v_and_or_b32 v22, v14, s2, v122
	v_lshl_add_u32 v22, v22, 4, 0
	ds_write_b128 v22, v[34:37]
	ds_write_b128 v22, v[18:21] offset:64
	v_and_or_b32 v18, v15, s2, v122
	v_lshl_add_u32 v18, v18, 4, 0
	v_and_b32_e32 v122, 7, v86
	ds_write_b128 v18, v[26:29]
	ds_write_b128 v18, v[30:33] offset:64
	v_lshlrev_b32_e32 v18, 4, v122
	s_waitcnt lgkmcnt(0)
	; wave barrier
	s_waitcnt lgkmcnt(0)
	global_load_dwordx4 v[18:21], v18, s[12:13] offset:96
	ds_read_b128 v[22:25], v103 offset:8064
	ds_read_b128 v[26:29], v103 offset:8960
	ds_read_b128 v[30:33], v103
	ds_read_b128 v[34:37], v103 offset:9856
	s_movk_i32 s2, 0x70
	s_movk_i32 s3, 0x2f0
	s_waitcnt vmcnt(0) lgkmcnt(3)
	v_mul_f64 v[38:39], v[24:25], v[20:21]
	v_mul_f64 v[40:41], v[22:23], v[20:21]
	s_waitcnt lgkmcnt(2)
	v_mul_f64 v[42:43], v[28:29], v[20:21]
	v_mul_f64 v[44:45], v[26:27], v[20:21]
	v_fma_f64 v[46:47], v[22:23], v[18:19], v[38:39]
	v_fma_f64 v[48:49], v[24:25], v[18:19], -v[40:41]
	ds_read_b128 v[22:25], v103 offset:10752
	v_fma_f64 v[50:51], v[26:27], v[18:19], v[42:43]
	v_fma_f64 v[52:53], v[28:29], v[18:19], -v[44:45]
	ds_read_b128 v[26:29], v103 offset:11648
	ds_read_b128 v[38:41], v103 offset:12544
	s_waitcnt lgkmcnt(3)
	v_mul_f64 v[54:55], v[36:37], v[20:21]
	s_waitcnt lgkmcnt(2)
	v_mul_f64 v[58:59], v[24:25], v[20:21]
	v_mul_f64 v[60:61], v[22:23], v[20:21]
	s_waitcnt lgkmcnt(1)
	v_mul_f64 v[62:63], v[28:29], v[20:21]
	v_mul_f64 v[64:65], v[26:27], v[20:21]
	;; [unrolled: 1-line block ×3, first 2 shown]
	s_waitcnt lgkmcnt(0)
	v_mul_f64 v[66:67], v[40:41], v[20:21]
	ds_read_b128 v[42:45], v103 offset:13440
	v_fma_f64 v[68:69], v[34:35], v[18:19], v[54:55]
	v_mul_f64 v[34:35], v[38:39], v[20:21]
	v_fma_f64 v[72:73], v[22:23], v[18:19], v[58:59]
	v_fma_f64 v[74:75], v[24:25], v[18:19], -v[60:61]
	ds_read_b128 v[22:25], v103 offset:14336
	v_fma_f64 v[76:77], v[26:27], v[18:19], v[62:63]
	v_fma_f64 v[78:79], v[28:29], v[18:19], -v[64:65]
	ds_read_b128 v[26:29], v103 offset:15232
	v_fma_f64 v[70:71], v[36:37], v[18:19], -v[56:57]
	v_fma_f64 v[66:67], v[38:39], v[18:19], v[66:67]
	v_fma_f64 v[80:81], v[40:41], v[18:19], -v[34:35]
	s_waitcnt lgkmcnt(2)
	v_mul_f64 v[38:39], v[44:45], v[20:21]
	v_mul_f64 v[40:41], v[42:43], v[20:21]
	s_waitcnt lgkmcnt(1)
	v_mul_f64 v[54:55], v[24:25], v[20:21]
	v_mul_f64 v[56:57], v[22:23], v[20:21]
	;; [unrolled: 3-line block ×3, first 2 shown]
	v_add_f64 v[34:35], v[30:31], -v[46:47]
	v_add_f64 v[36:37], v[32:33], -v[48:49]
	v_fma_f64 v[82:83], v[42:43], v[18:19], v[38:39]
	v_fma_f64 v[99:100], v[44:45], v[18:19], -v[40:41]
	v_fma_f64 v[114:115], v[22:23], v[18:19], v[54:55]
	v_fma_f64 v[116:117], v[24:25], v[18:19], -v[56:57]
	;; [unrolled: 2-line block ×3, first 2 shown]
	v_fma_f64 v[18:19], v[30:31], 2.0, -v[34:35]
	v_fma_f64 v[20:21], v[32:33], 2.0, -v[36:37]
	ds_read_b128 v[22:25], v108
	ds_read_b128 v[26:29], v7
	;; [unrolled: 1-line block ×6, first 2 shown]
	s_waitcnt lgkmcnt(5)
	v_add_f64 v[50:51], v[22:23], -v[50:51]
	v_add_f64 v[52:53], v[24:25], -v[52:53]
	s_waitcnt lgkmcnt(2)
	v_add_f64 v[62:63], v[38:39], -v[68:69]
	v_add_f64 v[64:65], v[40:41], -v[70:71]
	v_and_or_b32 v7, v8, s2, v122
	s_movk_i32 s2, 0xf0
	v_and_or_b32 v5, v5, s2, v122
	v_lshl_add_u32 v7, v7, 4, 0
	v_fma_f64 v[22:23], v[22:23], 2.0, -v[50:51]
	v_fma_f64 v[24:25], v[24:25], 2.0, -v[52:53]
	v_lshl_add_u32 v5, v5, 4, 0
	ds_read_b128 v[54:57], v3
	ds_read_b128 v[58:61], v4
	s_waitcnt lgkmcnt(0)
	; wave barrier
	s_waitcnt lgkmcnt(0)
	ds_write_b128 v7, v[18:21]
	ds_write_b128 v7, v[34:37] offset:128
	v_fma_f64 v[18:19], v[38:39], 2.0, -v[62:63]
	v_fma_f64 v[20:21], v[40:41], 2.0, -v[64:65]
	ds_write_b128 v5, v[22:25]
	v_add_f64 v[22:23], v[42:43], -v[72:73]
	v_add_f64 v[24:25], v[44:45], -v[74:75]
	s_movk_i32 s2, 0x1f0
	ds_write_b128 v5, v[50:53] offset:128
	v_and_or_b32 v5, v10, s2, v122
	v_add_f64 v[7:8], v[46:47], -v[76:77]
	v_add_f64 v[9:10], v[48:49], -v[78:79]
	v_lshl_add_u32 v5, v5, 4, 0
	ds_write_b128 v5, v[18:21]
	v_fma_f64 v[18:19], v[42:43], 2.0, -v[22:23]
	v_fma_f64 v[20:21], v[44:45], 2.0, -v[24:25]
	v_add_f64 v[38:39], v[54:55], -v[66:67]
	v_add_f64 v[40:41], v[56:57], -v[80:81]
	v_fma_f64 v[34:35], v[46:47], 2.0, -v[7:8]
	v_fma_f64 v[36:37], v[48:49], 2.0, -v[9:10]
	ds_write_b128 v5, v[62:65] offset:128
	v_and_or_b32 v5, v11, s2, v122
	v_lshl_add_u32 v5, v5, 4, 0
	s_movk_i32 s2, 0x3f0
	ds_write_b128 v5, v[18:21]
	ds_write_b128 v5, v[22:25] offset:128
	v_and_or_b32 v5, v12, s2, v122
	v_fma_f64 v[18:19], v[54:55], 2.0, -v[38:39]
	v_fma_f64 v[20:21], v[56:57], 2.0, -v[40:41]
	v_lshl_add_u32 v5, v5, 4, 0
	ds_write_b128 v5, v[34:37]
	ds_write_b128 v5, v[7:10] offset:128
	v_add_f64 v[7:8], v[58:59], -v[82:83]
	v_add_f64 v[9:10], v[60:61], -v[99:100]
	v_and_or_b32 v5, v13, s3, v122
	v_lshl_add_u32 v5, v5, 4, 0
	v_add_f64 v[34:35], v[30:31], -v[118:119]
	ds_write_b128 v5, v[18:21]
	v_add_f64 v[18:19], v[26:27], -v[114:115]
	v_add_f64 v[20:21], v[28:29], -v[116:117]
	v_fma_f64 v[22:23], v[58:59], 2.0, -v[7:8]
	v_fma_f64 v[24:25], v[60:61], 2.0, -v[9:10]
	v_add_f64 v[36:37], v[32:33], -v[120:121]
	ds_write_b128 v5, v[38:41] offset:128
	v_and_or_b32 v5, v6, s2, v122
	v_lshl_add_u32 v5, v5, 4, 0
	v_fma_f64 v[26:27], v[26:27], 2.0, -v[18:19]
	v_fma_f64 v[28:29], v[28:29], 2.0, -v[20:21]
	ds_write_b128 v5, v[7:10] offset:128
	ds_write_b128 v5, v[22:25]
	v_fma_f64 v[22:23], v[30:31], 2.0, -v[34:35]
	v_fma_f64 v[24:25], v[32:33], 2.0, -v[36:37]
	v_and_or_b32 v5, v14, s2, v122
	v_lshl_add_u32 v5, v5, 4, 0
	ds_write_b128 v5, v[26:29]
	ds_write_b128 v5, v[18:21] offset:128
	v_and_or_b32 v5, v15, s2, v122
	v_lshl_add_u32 v5, v5, 4, 0
	ds_write_b128 v5, v[22:25]
	ds_write_b128 v5, v[34:37] offset:128
	v_lshlrev_b32_e32 v5, 5, v124
	s_waitcnt lgkmcnt(0)
	; wave barrier
	s_waitcnt lgkmcnt(0)
	global_load_dwordx4 v[6:9], v5, s[12:13] offset:224
	global_load_dwordx4 v[10:13], v5, s[12:13] offset:240
	v_lshlrev_b32_e32 v5, 5, v125
	global_load_dwordx4 v[18:21], v5, s[12:13] offset:224
	global_load_dwordx4 v[22:25], v5, s[12:13] offset:240
	v_and_b32_e32 v5, 15, v86
	v_lshlrev_b32_e32 v14, 5, v5
	global_load_dwordx4 v[26:29], v14, s[12:13] offset:224
	global_load_dwordx4 v[30:33], v14, s[12:13] offset:240
	v_lshlrev_b32_e32 v14, 5, v126
	global_load_dwordx4 v[34:37], v14, s[12:13] offset:224
	global_load_dwordx4 v[38:41], v14, s[12:13] offset:240
	ds_read_b128 v[42:45], v103 offset:6272
	ds_read_b128 v[46:49], v103
	ds_read_b128 v[50:53], v103 offset:11648
	ds_read_b128 v[54:57], v103 offset:8064
	ds_read_b128 v[58:61], v103 offset:10752
	s_mov_b32 s2, 0xe8584caa
	s_mov_b32 s3, 0xbfebb67a
	;; [unrolled: 1-line block ×3, first 2 shown]
	s_waitcnt vmcnt(7) lgkmcnt(4)
	v_mul_f64 v[62:63], v[44:45], v[8:9]
	v_mul_f64 v[8:9], v[42:43], v[8:9]
	s_waitcnt vmcnt(6) lgkmcnt(2)
	v_mul_f64 v[64:65], v[52:53], v[12:13]
	v_mul_f64 v[66:67], v[50:51], v[12:13]
	ds_read_b128 v[12:15], v103 offset:7168
	s_waitcnt vmcnt(5) lgkmcnt(2)
	v_mul_f64 v[68:69], v[56:57], v[20:21]
	v_fma_f64 v[74:75], v[42:43], v[6:7], v[62:63]
	v_fma_f64 v[76:77], v[44:45], v[6:7], -v[8:9]
	ds_read_b128 v[6:9], v103 offset:13440
	v_fma_f64 v[78:79], v[50:51], v[10:11], v[64:65]
	v_fma_f64 v[80:81], v[52:53], v[10:11], -v[66:67]
	v_mul_f64 v[10:11], v[54:55], v[20:21]
	v_fma_f64 v[82:83], v[54:55], v[18:19], v[68:69]
	s_waitcnt vmcnt(4) lgkmcnt(0)
	v_mul_f64 v[20:21], v[8:9], v[24:25]
	v_mul_f64 v[24:25], v[6:7], v[24:25]
	ds_read_b128 v[42:45], v4
	ds_read_b128 v[50:53], v103 offset:12544
	ds_read_b128 v[62:65], v3
	ds_read_b128 v[66:69], v103 offset:8960
	s_waitcnt vmcnt(3)
	v_mul_f64 v[114:115], v[14:15], v[28:29]
	s_waitcnt lgkmcnt(3)
	v_mul_f64 v[54:55], v[44:45], v[28:29]
	v_mul_f64 v[99:100], v[42:43], v[28:29]
	;; [unrolled: 1-line block ×3, first 2 shown]
	s_waitcnt lgkmcnt(0)
	v_mul_f64 v[118:119], v[68:69], v[28:29]
	v_fma_f64 v[120:121], v[6:7], v[22:23], v[20:21]
	v_fma_f64 v[122:123], v[8:9], v[22:23], -v[24:25]
	v_mul_f64 v[22:23], v[66:67], v[28:29]
	s_waitcnt vmcnt(2)
	v_mul_f64 v[24:25], v[60:61], v[32:33]
	v_mul_f64 v[28:29], v[58:59], v[32:33]
	ds_read_b128 v[70:73], v103 offset:9856
	ds_read_b128 v[6:9], v103 offset:14336
	v_fma_f64 v[56:57], v[56:57], v[18:19], -v[10:11]
	v_fma_f64 v[18:19], v[42:43], v[26:27], v[54:55]
	v_fma_f64 v[20:21], v[44:45], v[26:27], -v[99:100]
	v_fma_f64 v[42:43], v[12:13], v[26:27], v[114:115]
	;; [unrolled: 2-line block ×3, first 2 shown]
	v_mul_f64 v[54:55], v[52:53], v[32:33]
	v_mul_f64 v[66:67], v[50:51], v[32:33]
	s_waitcnt lgkmcnt(0)
	v_mul_f64 v[99:100], v[8:9], v[32:33]
	v_fma_f64 v[68:69], v[68:69], v[26:27], -v[22:23]
	v_mul_f64 v[22:23], v[6:7], v[32:33]
	v_fma_f64 v[24:25], v[58:59], v[30:31], v[24:25]
	v_fma_f64 v[26:27], v[60:61], v[30:31], -v[28:29]
	s_waitcnt vmcnt(1)
	v_mul_f64 v[28:29], v[72:73], v[36:37]
	ds_read_b128 v[10:13], v103 offset:15232
	v_fma_f64 v[50:51], v[50:51], v[30:31], v[54:55]
	v_fma_f64 v[52:53], v[52:53], v[30:31], -v[66:67]
	v_fma_f64 v[54:55], v[6:7], v[30:31], v[99:100]
	v_mul_f64 v[6:7], v[70:71], v[36:37]
	v_fma_f64 v[58:59], v[8:9], v[30:31], -v[22:23]
	s_waitcnt vmcnt(0) lgkmcnt(0)
	v_mul_f64 v[8:9], v[12:13], v[40:41]
	v_mul_f64 v[22:23], v[10:11], v[40:41]
	v_add_f64 v[30:31], v[18:19], v[24:25]
	v_add_f64 v[32:33], v[20:21], v[26:27]
	v_fma_f64 v[40:41], v[70:71], v[34:35], v[28:29]
	v_add_f64 v[28:29], v[48:49], v[20:21]
	v_fma_f64 v[60:61], v[72:73], v[34:35], -v[6:7]
	v_add_f64 v[6:7], v[46:47], v[18:19]
	v_fma_f64 v[66:67], v[10:11], v[38:39], v[8:9]
	v_fma_f64 v[38:39], v[12:13], v[38:39], -v[22:23]
	v_fma_f64 v[12:13], v[30:31], -0.5, v[46:47]
	v_fma_f64 v[22:23], v[32:33], -0.5, v[48:49]
	v_add_f64 v[20:21], v[20:21], -v[26:27]
	v_add_f64 v[8:9], v[28:29], v[26:27]
	v_add_f64 v[26:27], v[18:19], -v[24:25]
	v_add_f64 v[46:47], v[74:75], v[78:79]
	v_lshrrev_b32_e32 v48, 4, v86
	v_add_f64 v[6:7], v[6:7], v[24:25]
	v_mul_u32_u24_e32 v48, 48, v48
	v_or_b32_e32 v48, v48, v5
	v_fma_f64 v[10:11], v[20:21], s[2:3], v[12:13]
	v_fma_f64 v[18:19], v[20:21], s[6:7], v[12:13]
	;; [unrolled: 1-line block ×4, first 2 shown]
	ds_read_b128 v[22:25], v108
	ds_read_b128 v[26:29], v0
	;; [unrolled: 1-line block ×4, first 2 shown]
	v_lshl_add_u32 v99, v48, 4, 0
	v_add_f64 v[48:49], v[76:77], v[80:81]
	s_waitcnt lgkmcnt(3)
	v_fma_f64 v[46:47], v[46:47], -0.5, v[22:23]
	v_add_f64 v[22:23], v[22:23], v[74:75]
	s_waitcnt lgkmcnt(0)
	; wave barrier
	s_waitcnt lgkmcnt(0)
	v_add_f64 v[70:71], v[24:25], v[76:77]
	ds_write_b128 v99, v[6:9]
	ds_write_b128 v99, v[10:13] offset:256
	ds_write_b128 v99, v[18:21] offset:512
	v_add_f64 v[72:73], v[76:77], -v[80:81]
	v_fma_f64 v[20:21], v[48:49], -0.5, v[24:25]
	v_add_f64 v[24:25], v[74:75], -v[78:79]
	v_add_f64 v[6:7], v[22:23], v[78:79]
	v_add_f64 v[22:23], v[42:43], v[50:51]
	v_lshrrev_b32_e32 v12, 4, v90
	v_mul_lo_u32 v48, v12, 48
	v_add_f64 v[8:9], v[70:71], v[80:81]
	v_fma_f64 v[10:11], v[72:73], s[2:3], v[46:47]
	v_fma_f64 v[18:19], v[72:73], s[6:7], v[46:47]
	;; [unrolled: 1-line block ×4, first 2 shown]
	v_or_b32_e32 v24, v48, v124
	v_fma_f64 v[22:23], v[22:23], -0.5, v[26:27]
	v_add_f64 v[26:27], v[26:27], v[42:43]
	v_lshl_add_u32 v48, v24, 4, 0
	v_add_f64 v[24:25], v[14:15], v[52:53]
	v_add_f64 v[46:47], v[28:29], v[14:15]
	v_add_f64 v[14:15], v[14:15], -v[52:53]
	ds_write_b128 v48, v[6:9]
	ds_write_b128 v48, v[10:13] offset:256
	ds_write_b128 v48, v[18:21] offset:512
	v_lshrrev_b32_e32 v12, 4, v98
	v_mov_b32_e32 v100, 0
	v_add_f64 v[6:7], v[26:27], v[50:51]
	v_add_f64 v[26:27], v[82:83], v[120:121]
	v_fma_f64 v[20:21], v[24:25], -0.5, v[28:29]
	v_add_f64 v[24:25], v[42:43], -v[50:51]
	v_mul_lo_u32 v28, v12, 48
	v_fma_f64 v[10:11], v[14:15], s[2:3], v[22:23]
	v_fma_f64 v[18:19], v[14:15], s[6:7], v[22:23]
	v_add_f64 v[8:9], v[46:47], v[52:53]
	v_or_b32_e32 v14, v28, v5
	v_lshl_add_u32 v42, v14, 4, 0
	v_add_f64 v[14:15], v[56:57], v[122:123]
	v_fma_f64 v[22:23], v[26:27], -0.5, v[30:31]
	v_add_f64 v[28:29], v[56:57], -v[122:123]
	v_fma_f64 v[12:13], v[24:25], s[6:7], v[20:21]
	v_fma_f64 v[20:21], v[24:25], s[2:3], v[20:21]
	v_add_f64 v[24:25], v[32:33], v[56:57]
	v_add_f64 v[26:27], v[30:31], v[82:83]
	ds_write_b128 v42, v[6:9]
	ds_write_b128 v42, v[10:13] offset:256
	ds_write_b128 v42, v[18:21] offset:512
	v_fma_f64 v[14:15], v[14:15], -0.5, v[32:33]
	v_add_f64 v[20:21], v[82:83], -v[120:121]
	v_fma_f64 v[10:11], v[28:29], s[2:3], v[22:23]
	v_fma_f64 v[18:19], v[28:29], s[6:7], v[22:23]
	v_add_f64 v[22:23], v[44:45], v[54:55]
	v_add_f64 v[8:9], v[24:25], v[122:123]
	;; [unrolled: 1-line block ×3, first 2 shown]
	v_lshrrev_b32_e32 v12, 4, v97
	v_mul_lo_u32 v24, v12, 48
	v_fma_f64 v[12:13], v[20:21], s[6:7], v[14:15]
	v_fma_f64 v[20:21], v[20:21], s[2:3], v[14:15]
	v_add_f64 v[26:27], v[68:69], -v[58:59]
	v_fma_f64 v[22:23], v[22:23], -0.5, v[34:35]
	v_or_b32_e32 v24, v24, v125
	v_lshl_add_u32 v30, v24, 4, 0
	v_add_f64 v[14:15], v[68:69], v[58:59]
	ds_write_b128 v30, v[6:9]
	v_add_f64 v[6:7], v[36:37], v[68:69]
	v_add_f64 v[24:25], v[34:35], v[44:45]
	ds_write_b128 v30, v[10:13] offset:256
	ds_write_b128 v30, v[18:21] offset:512
	v_add_f64 v[20:21], v[40:41], v[66:67]
	v_fma_f64 v[10:11], v[26:27], s[2:3], v[22:23]
	v_fma_f64 v[18:19], v[26:27], s[6:7], v[22:23]
	v_add_f64 v[22:23], v[60:61], v[38:39]
	v_fma_f64 v[14:15], v[14:15], -0.5, v[36:37]
	v_add_f64 v[28:29], v[44:45], -v[54:55]
	v_add_f64 v[8:9], v[6:7], v[58:59]
	v_add_f64 v[6:7], v[24:25], v[54:55]
	v_lshrrev_b32_e32 v24, 4, v96
	v_mul_lo_u32 v42, v24, 48
	v_add_f64 v[24:25], v[64:65], v[60:61]
	v_add_f64 v[26:27], v[62:63], v[40:41]
	v_fma_f64 v[30:31], v[20:21], -0.5, v[62:63]
	v_add_f64 v[32:33], v[60:61], -v[38:39]
	v_fma_f64 v[34:35], v[22:23], -0.5, v[64:65]
	v_add_f64 v[36:37], v[40:41], -v[66:67]
	v_fma_f64 v[12:13], v[28:29], s[6:7], v[14:15]
	v_fma_f64 v[20:21], v[28:29], s[2:3], v[14:15]
	v_add_f64 v[24:25], v[24:25], v[38:39]
	v_add_f64 v[22:23], v[26:27], v[66:67]
	v_lshrrev_b32_e32 v14, 4, v95
	v_fma_f64 v[26:27], v[32:33], s[2:3], v[30:31]
	v_fma_f64 v[30:31], v[32:33], s[6:7], v[30:31]
	;; [unrolled: 1-line block ×4, first 2 shown]
	v_mul_lo_u32 v14, v14, 48
	v_or_b32_e32 v5, v42, v5
	v_lshl_add_u32 v5, v5, 4, 0
	ds_write_b128 v5, v[6:9]
	ds_write_b128 v5, v[10:13] offset:256
	ds_write_b128 v5, v[18:21] offset:512
	v_or_b32_e32 v5, v14, v126
	v_lshl_add_u32 v5, v5, 4, 0
	ds_write_b128 v5, v[22:25]
	ds_write_b128 v5, v[26:29] offset:256
	ds_write_b128 v5, v[30:33] offset:512
	v_subrev_u32_e32 v5, 48, v86
	v_cndmask_b32_e32 v15, v5, v86, vcc
	v_lshlrev_b32_e32 v99, 1, v15
	v_lshlrev_b64 v[5:6], 4, v[99:100]
	v_mov_b32_e32 v7, s13
	v_add_co_u32_e32 v13, vcc, s12, v5
	v_addc_co_u32_e32 v14, vcc, v7, v6, vcc
	s_waitcnt lgkmcnt(0)
	; wave barrier
	s_waitcnt lgkmcnt(0)
	global_load_dwordx4 v[5:8], v[13:14], off offset:736
	global_load_dwordx4 v[9:12], v[13:14], off offset:752
	v_mul_lo_u16_sdwa v13, v90, s8 dst_sel:DWORD dst_unused:UNUSED_PAD src0_sel:BYTE_0 src1_sel:DWORD
	v_lshrrev_b16_e32 v99, 13, v13
	v_mul_lo_u16_e32 v13, 48, v99
	v_sub_u16_e32 v124, v90, v13
	v_mov_b32_e32 v13, 5
	v_lshlrev_b32_sdwa v14, v13, v124 dst_sel:DWORD dst_unused:UNUSED_PAD src0_sel:DWORD src1_sel:BYTE_0
	global_load_dwordx4 v[20:23], v14, s[12:13] offset:736
	global_load_dwordx4 v[24:27], v14, s[12:13] offset:752
	v_mul_lo_u16_sdwa v14, v98, s8 dst_sel:DWORD dst_unused:UNUSED_PAD src0_sel:BYTE_0 src1_sel:DWORD
	v_lshrrev_b16_e32 v125, 13, v14
	v_mul_lo_u16_e32 v14, 48, v125
	v_sub_u16_e32 v126, v98, v14
	v_lshlrev_b32_sdwa v14, v13, v126 dst_sel:DWORD dst_unused:UNUSED_PAD src0_sel:DWORD src1_sel:BYTE_0
	global_load_dwordx4 v[28:31], v14, s[12:13] offset:736
	global_load_dwordx4 v[32:35], v14, s[12:13] offset:752
	v_mul_lo_u16_sdwa v14, v97, s8 dst_sel:DWORD dst_unused:UNUSED_PAD src0_sel:BYTE_0 src1_sel:DWORD
	v_lshrrev_b16_e32 v127, 13, v14
	v_mul_lo_u16_e32 v14, 48, v127
	v_sub_u16_e32 v128, v97, v14
	v_lshlrev_b32_sdwa v13, v13, v128 dst_sel:DWORD dst_unused:UNUSED_PAD src0_sel:DWORD src1_sel:BYTE_0
	s_mov_b32 s8, 0xaaab
	global_load_dwordx4 v[36:39], v13, s[12:13] offset:736
	global_load_dwordx4 v[40:43], v13, s[12:13] offset:752
	v_mul_u32_u24_sdwa v13, v96, s8 dst_sel:DWORD dst_unused:UNUSED_PAD src0_sel:WORD_0 src1_sel:DWORD
	v_lshrrev_b32_e32 v18, 21, v13
	v_mul_lo_u16_e32 v13, 48, v18
	v_sub_u16_e32 v19, v96, v13
	v_lshlrev_b32_e32 v13, 5, v19
	global_load_dwordx4 v[44:47], v13, s[12:13] offset:736
	global_load_dwordx4 v[48:51], v13, s[12:13] offset:752
	v_mul_u32_u24_sdwa v13, v95, s8 dst_sel:DWORD dst_unused:UNUSED_PAD src0_sel:WORD_0 src1_sel:DWORD
	v_lshrrev_b32_e32 v129, 21, v13
	v_mul_lo_u16_e32 v13, 48, v129
	v_sub_u16_e32 v130, v95, v13
	v_lshlrev_b32_e32 v13, 5, v130
	global_load_dwordx4 v[52:55], v13, s[12:13] offset:736
	global_load_dwordx4 v[56:59], v13, s[12:13] offset:752
	ds_read_b128 v[60:63], v4
	ds_read_b128 v[64:67], v3
	ds_read_b128 v[68:71], v103 offset:10752
	ds_read_b128 v[72:75], v103 offset:6272
	;; [unrolled: 1-line block ×3, first 2 shown]
	v_cmp_lt_u32_e32 vcc, 47, v86
	v_lshlrev_b32_e32 v15, 4, v15
	v_mul_u32_u24_e32 v18, 0x900, v18
	v_lshlrev_b32_e32 v19, 4, v19
	v_add3_u32 v18, 0, v18, v19
	v_lshlrev_b32_e32 v19, 4, v130
	s_waitcnt vmcnt(11) lgkmcnt(4)
	v_mul_f64 v[3:4], v[62:63], v[7:8]
	v_mul_f64 v[7:8], v[60:61], v[7:8]
	s_waitcnt vmcnt(10) lgkmcnt(2)
	v_mul_f64 v[80:81], v[70:71], v[11:12]
	v_mul_f64 v[82:83], v[68:69], v[11:12]
	ds_read_b128 v[11:14], v103
	s_waitcnt vmcnt(9) lgkmcnt(2)
	v_mul_f64 v[114:115], v[74:75], v[22:23]
	v_mul_f64 v[22:23], v[72:73], v[22:23]
	v_fma_f64 v[116:117], v[60:61], v[5:6], v[3:4]
	v_fma_f64 v[118:119], v[62:63], v[5:6], -v[7:8]
	ds_read_b128 v[3:6], v103 offset:7168
	v_fma_f64 v[68:69], v[68:69], v[9:10], v[80:81]
	v_fma_f64 v[70:71], v[70:71], v[9:10], -v[82:83]
	s_waitcnt vmcnt(8) lgkmcnt(2)
	v_mul_f64 v[80:81], v[78:79], v[26:27]
	v_fma_f64 v[72:73], v[72:73], v[20:21], v[114:115]
	s_waitcnt vmcnt(7) lgkmcnt(0)
	v_mul_f64 v[82:83], v[5:6], v[30:31]
	v_mul_f64 v[30:31], v[3:4], v[30:31]
	v_fma_f64 v[74:75], v[74:75], v[20:21], -v[22:23]
	ds_read_b128 v[7:10], v103 offset:12544
	ds_read_b128 v[20:23], v103 offset:8064
	v_mul_f64 v[26:27], v[76:77], v[26:27]
	ds_read_b128 v[60:63], v103 offset:13440
	v_fma_f64 v[76:77], v[76:77], v[24:25], v[80:81]
	s_waitcnt vmcnt(6) lgkmcnt(2)
	v_mul_f64 v[114:115], v[9:10], v[34:35]
	v_mul_f64 v[34:35], v[7:8], v[34:35]
	s_waitcnt vmcnt(5) lgkmcnt(1)
	v_mul_f64 v[120:121], v[22:23], v[38:39]
	v_mul_f64 v[38:39], v[20:21], v[38:39]
	v_fma_f64 v[80:81], v[3:4], v[28:29], v[82:83]
	v_fma_f64 v[82:83], v[5:6], v[28:29], -v[30:31]
	ds_read_b128 v[3:6], v103 offset:8960
	s_waitcnt vmcnt(4) lgkmcnt(1)
	v_mul_f64 v[28:29], v[62:63], v[42:43]
	v_fma_f64 v[114:115], v[7:8], v[32:33], v[114:115]
	v_fma_f64 v[122:123], v[9:10], v[32:33], -v[34:35]
	v_fma_f64 v[120:121], v[20:21], v[36:37], v[120:121]
	s_waitcnt vmcnt(3) lgkmcnt(0)
	v_mul_f64 v[32:33], v[5:6], v[46:47]
	v_mul_f64 v[34:35], v[3:4], v[46:47]
	v_fma_f64 v[36:37], v[22:23], v[36:37], -v[38:39]
	ds_read_b128 v[7:10], v103 offset:14336
	ds_read_b128 v[20:23], v103 offset:9856
	v_mul_f64 v[30:31], v[60:61], v[42:43]
	v_fma_f64 v[78:79], v[78:79], v[24:25], -v[26:27]
	ds_read_b128 v[24:27], v103 offset:15232
	s_waitcnt vmcnt(2) lgkmcnt(2)
	v_mul_f64 v[38:39], v[9:10], v[50:51]
	v_mul_f64 v[42:43], v[7:8], v[50:51]
	s_waitcnt vmcnt(1) lgkmcnt(1)
	v_mul_f64 v[46:47], v[22:23], v[54:55]
	v_fma_f64 v[50:51], v[60:61], v[40:41], v[28:29]
	v_fma_f64 v[60:61], v[3:4], v[44:45], v[32:33]
	v_fma_f64 v[44:45], v[5:6], v[44:45], -v[34:35]
	v_add_f64 v[3:4], v[116:117], v[68:69]
	v_add_f64 v[5:6], v[118:119], v[70:71]
	v_fma_f64 v[40:41], v[62:63], v[40:41], -v[30:31]
	v_fma_f64 v[38:39], v[7:8], v[48:49], v[38:39]
	v_fma_f64 v[42:43], v[9:10], v[48:49], -v[42:43]
	v_fma_f64 v[46:47], v[20:21], v[52:53], v[46:47]
	v_mul_f64 v[7:8], v[20:21], v[54:55]
	s_waitcnt vmcnt(0) lgkmcnt(0)
	v_mul_f64 v[9:10], v[26:27], v[58:59]
	v_mul_f64 v[20:21], v[24:25], v[58:59]
	v_fma_f64 v[28:29], v[3:4], -0.5, v[11:12]
	v_add_f64 v[3:4], v[13:14], v[118:119]
	v_add_f64 v[11:12], v[11:12], v[116:117]
	v_add_f64 v[30:31], v[118:119], -v[70:71]
	v_fma_f64 v[13:14], v[5:6], -0.5, v[13:14]
	v_add_f64 v[32:33], v[116:117], -v[68:69]
	v_fma_f64 v[48:49], v[22:23], v[52:53], -v[7:8]
	v_fma_f64 v[52:53], v[24:25], v[56:57], v[9:10]
	v_fma_f64 v[54:55], v[26:27], v[56:57], -v[20:21]
	v_add_f64 v[5:6], v[3:4], v[70:71]
	v_add_f64 v[3:4], v[11:12], v[68:69]
	v_fma_f64 v[7:8], v[30:31], s[2:3], v[28:29]
	v_add_f64 v[56:57], v[72:73], v[76:77]
	v_fma_f64 v[9:10], v[32:33], s[6:7], v[13:14]
	v_fma_f64 v[11:12], v[30:31], s[6:7], v[28:29]
	v_fma_f64 v[13:14], v[32:33], s[2:3], v[13:14]
	v_mov_b32_e32 v20, 0x900
	v_cndmask_b32_e32 v20, 0, v20, vcc
	v_add3_u32 v15, 0, v20, v15
	ds_read_b128 v[20:23], v0
	ds_read_b128 v[24:27], v108
	;; [unrolled: 1-line block ×4, first 2 shown]
	v_add_f64 v[0:1], v[74:75], v[78:79]
	s_waitcnt lgkmcnt(0)
	; wave barrier
	s_waitcnt lgkmcnt(0)
	v_fma_f64 v[56:57], v[56:57], -0.5, v[24:25]
	v_add_f64 v[58:59], v[26:27], v[74:75]
	v_add_f64 v[24:25], v[24:25], v[72:73]
	ds_write_b128 v15, v[3:6]
	ds_write_b128 v15, v[7:10] offset:768
	ds_write_b128 v15, v[11:14] offset:1536
	v_add_f64 v[12:13], v[80:81], v[114:115]
	v_add_f64 v[62:63], v[74:75], -v[78:79]
	v_fma_f64 v[26:27], v[0:1], -0.5, v[26:27]
	v_add_f64 v[68:69], v[72:73], -v[76:77]
	v_add_f64 v[14:15], v[82:83], v[122:123]
	v_add_f64 v[2:3], v[58:59], v[78:79]
	;; [unrolled: 1-line block ×3, first 2 shown]
	v_mul_u32_u24_e32 v24, 0x900, v99
	v_fma_f64 v[12:13], v[12:13], -0.5, v[20:21]
	v_add_f64 v[20:21], v[20:21], v[80:81]
	v_fma_f64 v[4:5], v[62:63], s[2:3], v[56:57]
	v_fma_f64 v[8:9], v[62:63], s[6:7], v[56:57]
	v_mov_b32_e32 v56, 4
	v_lshlrev_b32_sdwa v25, v56, v124 dst_sel:DWORD dst_unused:UNUSED_PAD src0_sel:DWORD src1_sel:BYTE_0
	v_fma_f64 v[6:7], v[68:69], s[6:7], v[26:27]
	v_fma_f64 v[10:11], v[68:69], s[2:3], v[26:27]
	v_add3_u32 v57, 0, v24, v25
	v_add_f64 v[24:25], v[22:23], v[82:83]
	v_add_f64 v[26:27], v[82:83], -v[122:123]
	v_fma_f64 v[14:15], v[14:15], -0.5, v[22:23]
	v_add_f64 v[22:23], v[80:81], -v[114:115]
	ds_write_b128 v57, v[0:3]
	v_add_f64 v[0:1], v[20:21], v[114:115]
	v_add_f64 v[20:21], v[120:121], v[50:51]
	ds_write_b128 v57, v[4:7] offset:768
	ds_write_b128 v57, v[8:11] offset:1536
	v_add_f64 v[2:3], v[24:25], v[122:123]
	v_fma_f64 v[4:5], v[26:27], s[2:3], v[12:13]
	v_fma_f64 v[8:9], v[26:27], s[6:7], v[12:13]
	;; [unrolled: 1-line block ×4, first 2 shown]
	v_add_f64 v[12:13], v[36:37], v[40:41]
	v_mul_u32_u24_e32 v14, 0x900, v125
	v_lshlrev_b32_sdwa v15, v56, v126 dst_sel:DWORD dst_unused:UNUSED_PAD src0_sel:DWORD src1_sel:BYTE_0
	v_add3_u32 v57, 0, v14, v15
	v_fma_f64 v[14:15], v[20:21], -0.5, v[28:29]
	v_add_f64 v[20:21], v[30:31], v[36:37]
	v_add_f64 v[22:23], v[28:29], v[120:121]
	v_add_f64 v[24:25], v[36:37], -v[40:41]
	v_fma_f64 v[12:13], v[12:13], -0.5, v[30:31]
	v_add_f64 v[26:27], v[120:121], -v[50:51]
	ds_write_b128 v57, v[0:3]
	ds_write_b128 v57, v[4:7] offset:768
	ds_write_b128 v57, v[8:11] offset:1536
	v_add_f64 v[28:29], v[48:49], -v[54:55]
	v_add_u32_e32 v114, v16, v17
	v_add_f64 v[2:3], v[20:21], v[40:41]
	v_add_f64 v[0:1], v[22:23], v[50:51]
	v_fma_f64 v[4:5], v[24:25], s[2:3], v[14:15]
	v_fma_f64 v[8:9], v[24:25], s[6:7], v[14:15]
	v_lshlrev_b32_sdwa v14, v56, v128 dst_sel:DWORD dst_unused:UNUSED_PAD src0_sel:DWORD src1_sel:BYTE_0
	v_mul_u32_u24_e32 v15, 0x900, v127
	v_fma_f64 v[6:7], v[26:27], s[6:7], v[12:13]
	v_add3_u32 v20, 0, v15, v14
	v_fma_f64 v[10:11], v[26:27], s[2:3], v[12:13]
	ds_write_b128 v20, v[0:3]
	v_add_f64 v[0:1], v[44:45], v[42:43]
	v_add_f64 v[12:13], v[60:61], v[38:39]
	;; [unrolled: 1-line block ×4, first 2 shown]
	ds_write_b128 v20, v[4:7] offset:768
	v_add_f64 v[4:5], v[32:33], v[60:61]
	ds_write_b128 v20, v[8:11] offset:1536
	v_cmp_gt_u32_e32 vcc, 32, v86
	v_fma_f64 v[8:9], v[0:1], -0.5, v[34:35]
	v_add_f64 v[0:1], v[48:49], v[54:55]
	v_fma_f64 v[6:7], v[12:13], -0.5, v[32:33]
	v_add_f64 v[12:13], v[44:45], -v[42:43]
	v_add_f64 v[22:23], v[2:3], v[42:43]
	v_add_f64 v[2:3], v[60:61], -v[38:39]
	v_add_f64 v[20:21], v[4:5], v[38:39]
	v_fma_f64 v[10:11], v[14:15], -0.5, v[64:65]
	v_add_f64 v[4:5], v[66:67], v[48:49]
	v_add_f64 v[14:15], v[64:65], v[46:47]
	v_fma_f64 v[30:31], v[0:1], -0.5, v[66:67]
	v_add_f64 v[32:33], v[46:47], -v[52:53]
	v_fma_f64 v[24:25], v[12:13], s[2:3], v[6:7]
	v_fma_f64 v[26:27], v[2:3], s[6:7], v[8:9]
	;; [unrolled: 1-line block ×4, first 2 shown]
	v_add_f64 v[6:7], v[4:5], v[54:55]
	v_add_f64 v[4:5], v[14:15], v[52:53]
	v_fma_f64 v[8:9], v[28:29], s[2:3], v[10:11]
	v_fma_f64 v[12:13], v[28:29], s[6:7], v[10:11]
	;; [unrolled: 1-line block ×4, first 2 shown]
	ds_write_b128 v18, v[20:23]
	ds_write_b128 v18, v[24:27] offset:768
	ds_write_b128 v18, v[0:3] offset:1536
	v_mul_u32_u24_e32 v18, 0x900, v129
	v_add3_u32 v18, 0, v18, v19
	ds_write_b128 v18, v[4:7]
	ds_write_b128 v18, v[8:11] offset:768
	ds_write_b128 v18, v[12:15] offset:1536
	s_waitcnt lgkmcnt(0)
	; wave barrier
	s_waitcnt lgkmcnt(0)
	ds_read_b128 v[36:39], v103
	ds_read_b128 v[80:83], v103 offset:2304
	ds_read_b128 v[60:63], v103 offset:4608
	;; [unrolled: 1-line block ×11, first 2 shown]
	ds_read_b128 v[28:31], v108
	ds_read_b128 v[32:35], v103 offset:14720
                                        ; implicit-def: $vgpr26_vgpr27
                                        ; implicit-def: $vgpr22_vgpr23
                                        ; implicit-def: $vgpr18_vgpr19
	s_and_saveexec_b64 s[2:3], vcc
	s_cbranch_execz .LBB0_15
; %bb.14:
	ds_read_b128 v[0:3], v114
	ds_read_b128 v[4:7], v103 offset:4096
	ds_read_b128 v[8:11], v103 offset:6400
	;; [unrolled: 1-line block ×6, first 2 shown]
.LBB0_15:
	s_or_b64 exec, exec, s[2:3]
	v_mul_u32_u24_e32 v99, 6, v86
	v_lshlrev_b32_e32 v135, 4, v99
	global_load_dwordx4 v[115:118], v135, s[12:13] offset:2272
	global_load_dwordx4 v[119:122], v135, s[12:13] offset:2288
	;; [unrolled: 1-line block ×5, first 2 shown]
	s_nop 0
	global_load_dwordx4 v[135:138], v135, s[12:13] offset:2352
	v_mul_i32_i24_e32 v99, 6, v90
	v_lshlrev_b64 v[99:100], 4, v[99:100]
	v_mov_b32_e32 v139, s13
	v_add_co_u32_e64 v99, s[2:3], s12, v99
	v_addc_co_u32_e64 v100, s[2:3], v139, v100, s[2:3]
	global_load_dwordx4 v[139:142], v[99:100], off offset:2272
	global_load_dwordx4 v[143:146], v[99:100], off offset:2288
	global_load_dwordx4 v[147:150], v[99:100], off offset:2304
	global_load_dwordx4 v[151:154], v[99:100], off offset:2320
	global_load_dwordx4 v[155:158], v[99:100], off offset:2336
	global_load_dwordx4 v[159:162], v[99:100], off offset:2352
	s_mov_b32 s2, 0x37e14327
	s_mov_b32 s6, 0x36b3c0b5
	;; [unrolled: 1-line block ×20, first 2 shown]
	s_waitcnt lgkmcnt(0)
	; wave barrier
	s_waitcnt vmcnt(11) lgkmcnt(0)
	v_mul_f64 v[99:100], v[82:83], v[117:118]
	v_mul_f64 v[117:118], v[80:81], v[117:118]
	s_waitcnt vmcnt(10)
	v_mul_f64 v[163:164], v[62:63], v[121:122]
	v_mul_f64 v[121:122], v[60:61], v[121:122]
	s_waitcnt vmcnt(7)
	v_mul_f64 v[169:170], v[74:75], v[133:134]
	v_mul_f64 v[133:134], v[72:73], v[133:134]
	s_waitcnt vmcnt(6)
	v_mul_f64 v[171:172], v[78:79], v[137:138]
	v_mul_f64 v[137:138], v[76:77], v[137:138]
	;; [unrolled: 1-line block ×6, first 2 shown]
	s_waitcnt vmcnt(5)
	v_mul_f64 v[173:174], v[42:43], v[141:142]
	v_mul_f64 v[141:142], v[40:41], v[141:142]
	s_waitcnt vmcnt(3)
	v_mul_f64 v[177:178], v[50:51], v[149:150]
	v_mul_f64 v[149:150], v[48:49], v[149:150]
	v_fma_f64 v[80:81], v[80:81], v[115:116], v[99:100]
	v_fma_f64 v[82:83], v[82:83], v[115:116], -v[117:118]
	v_fma_f64 v[60:61], v[60:61], v[119:120], v[163:164]
	v_fma_f64 v[62:63], v[62:63], v[119:120], -v[121:122]
	;; [unrolled: 2-line block ×4, first 2 shown]
	v_mul_f64 v[175:176], v[46:47], v[145:146]
	v_mul_f64 v[145:146], v[44:45], v[145:146]
	s_waitcnt vmcnt(2)
	v_mul_f64 v[179:180], v[54:55], v[153:154]
	v_mul_f64 v[153:154], v[52:53], v[153:154]
	v_fma_f64 v[64:65], v[64:65], v[123:124], v[165:166]
	v_fma_f64 v[66:67], v[66:67], v[123:124], -v[125:126]
	v_fma_f64 v[68:69], v[68:69], v[127:128], v[167:168]
	v_fma_f64 v[70:71], v[70:71], v[127:128], -v[129:130]
	;; [unrolled: 2-line block ×4, first 2 shown]
	v_add_f64 v[40:41], v[80:81], v[76:77]
	v_add_f64 v[42:43], v[82:83], v[78:79]
	;; [unrolled: 1-line block ×4, first 2 shown]
	v_fma_f64 v[117:118], v[44:45], v[143:144], v[175:176]
	v_fma_f64 v[119:120], v[46:47], v[143:144], -v[145:146]
	v_fma_f64 v[125:126], v[52:53], v[151:152], v[179:180]
	v_fma_f64 v[127:128], v[54:55], v[151:152], -v[153:154]
	v_add_f64 v[44:45], v[80:81], -v[76:77]
	v_add_f64 v[46:47], v[82:83], -v[78:79]
	;; [unrolled: 1-line block ×4, first 2 shown]
	v_add_f64 v[60:61], v[64:65], v[68:69]
	v_add_f64 v[62:63], v[66:67], v[70:71]
	v_add_f64 v[64:65], v[68:69], -v[64:65]
	v_add_f64 v[66:67], v[70:71], -v[66:67]
	v_add_f64 v[68:69], v[48:49], v[40:41]
	v_add_f64 v[70:71], v[50:51], v[42:43]
	v_add_f64 v[72:73], v[48:49], -v[40:41]
	v_add_f64 v[74:75], v[50:51], -v[42:43]
	;; [unrolled: 1-line block ×6, first 2 shown]
	v_add_f64 v[76:77], v[64:65], v[52:53]
	v_add_f64 v[78:79], v[66:67], v[54:55]
	v_add_f64 v[80:81], v[64:65], -v[52:53]
	v_add_f64 v[82:83], v[66:67], -v[54:55]
	;; [unrolled: 1-line block ×4, first 2 shown]
	v_add_f64 v[60:61], v[60:61], v[68:69]
	v_add_f64 v[62:63], v[62:63], v[70:71]
	v_add_f64 v[64:65], v[44:45], -v[64:65]
	v_add_f64 v[66:67], v[46:47], -v[66:67]
	v_add_f64 v[44:45], v[76:77], v[44:45]
	v_add_f64 v[46:47], v[78:79], v[46:47]
	v_mul_f64 v[40:41], v[40:41], s[2:3]
	v_mul_f64 v[42:43], v[42:43], s[2:3]
	;; [unrolled: 1-line block ×8, first 2 shown]
	v_add_f64 v[36:37], v[36:37], v[60:61]
	v_add_f64 v[38:39], v[38:39], v[62:63]
	s_waitcnt vmcnt(1)
	v_mul_f64 v[181:182], v[58:59], v[157:158]
	v_mul_f64 v[157:158], v[56:57], v[157:158]
	s_waitcnt vmcnt(0)
	v_mul_f64 v[183:184], v[34:35], v[161:162]
	v_mul_f64 v[161:162], v[32:33], v[161:162]
	v_fma_f64 v[48:49], v[48:49], s[6:7], v[40:41]
	v_fma_f64 v[50:51], v[50:51], s[6:7], v[42:43]
	v_fma_f64 v[68:69], v[72:73], s[16:17], -v[68:69]
	v_fma_f64 v[70:71], v[74:75], s[16:17], -v[70:71]
	;; [unrolled: 1-line block ×4, first 2 shown]
	v_fma_f64 v[60:61], v[60:61], s[8:9], v[36:37]
	v_fma_f64 v[62:63], v[62:63], s[8:9], v[38:39]
	;; [unrolled: 1-line block ×4, first 2 shown]
	v_fma_f64 v[52:53], v[52:53], s[14:15], -v[76:77]
	v_fma_f64 v[54:55], v[54:55], s[14:15], -v[78:79]
	v_fma_f64 v[64:65], v[64:65], s[26:27], -v[80:81]
	v_fma_f64 v[66:67], v[66:67], s[26:27], -v[82:83]
	v_fma_f64 v[56:57], v[56:57], v[155:156], v[181:182]
	v_fma_f64 v[58:59], v[58:59], v[155:156], -v[157:158]
	v_add_f64 v[76:77], v[48:49], v[60:61]
	v_add_f64 v[78:79], v[50:51], v[62:63]
	;; [unrolled: 1-line block ×6, first 2 shown]
	v_fma_f64 v[68:69], v[46:47], s[22:23], v[74:75]
	v_fma_f64 v[70:71], v[44:45], s[22:23], v[72:73]
	;; [unrolled: 1-line block ×7, first 2 shown]
	v_fma_f64 v[74:75], v[34:35], v[159:160], -v[161:162]
	v_add_f64 v[80:81], v[121:122], v[125:126]
	v_add_f64 v[82:83], v[123:124], v[127:128]
	;; [unrolled: 1-line block ×3, first 2 shown]
	v_add_f64 v[42:43], v[62:63], -v[64:65]
	v_add_f64 v[44:45], v[48:49], -v[54:55]
	v_add_f64 v[46:47], v[52:53], v[50:51]
	v_add_f64 v[48:49], v[54:55], v[48:49]
	v_add_f64 v[50:51], v[50:51], -v[52:53]
	v_add_f64 v[52:53], v[60:61], -v[66:67]
	v_add_f64 v[54:55], v[64:65], v[62:63]
	v_add_f64 v[60:61], v[99:100], v[72:73]
	;; [unrolled: 1-line block ×3, first 2 shown]
	v_add_f64 v[64:65], v[99:100], -v[72:73]
	v_add_f64 v[66:67], v[115:116], -v[74:75]
	v_add_f64 v[72:73], v[117:118], v[56:57]
	v_add_f64 v[74:75], v[119:120], v[58:59]
	v_add_f64 v[56:57], v[117:118], -v[56:57]
	v_add_f64 v[58:59], v[119:120], -v[58:59]
	;; [unrolled: 1-line block ×4, first 2 shown]
	v_add_f64 v[32:33], v[68:69], v[76:77]
	v_add_f64 v[34:35], v[78:79], -v[70:71]
	v_add_f64 v[117:118], v[72:73], v[60:61]
	v_add_f64 v[119:120], v[74:75], v[62:63]
	v_add_f64 v[121:122], v[72:73], -v[60:61]
	v_add_f64 v[123:124], v[74:75], -v[62:63]
	;; [unrolled: 1-line block ×6, first 2 shown]
	v_add_f64 v[125:126], v[99:100], v[56:57]
	v_add_f64 v[127:128], v[115:116], v[58:59]
	v_add_f64 v[129:130], v[99:100], -v[56:57]
	v_add_f64 v[131:132], v[115:116], -v[58:59]
	v_add_f64 v[80:81], v[80:81], v[117:118]
	v_add_f64 v[82:83], v[82:83], v[119:120]
	v_add_f64 v[56:57], v[56:57], -v[64:65]
	v_add_f64 v[58:59], v[58:59], -v[66:67]
	;; [unrolled: 1-line block ×4, first 2 shown]
	v_add_f64 v[64:65], v[125:126], v[64:65]
	v_add_f64 v[66:67], v[127:128], v[66:67]
	;; [unrolled: 1-line block ×4, first 2 shown]
	v_mul_f64 v[60:61], v[60:61], s[2:3]
	v_mul_f64 v[62:63], v[62:63], s[2:3]
	v_mul_f64 v[117:118], v[72:73], s[6:7]
	v_mul_f64 v[119:120], v[74:75], s[6:7]
	v_mul_f64 v[125:126], v[129:130], s[18:19]
	v_mul_f64 v[127:128], v[131:132], s[18:19]
	v_mul_f64 v[129:130], v[56:57], s[14:15]
	v_mul_f64 v[131:132], v[58:59], s[14:15]
	v_fma_f64 v[80:81], v[80:81], s[8:9], v[28:29]
	v_fma_f64 v[82:83], v[82:83], s[8:9], v[30:31]
	;; [unrolled: 1-line block ×4, first 2 shown]
	v_fma_f64 v[117:118], v[121:122], s[16:17], -v[117:118]
	v_fma_f64 v[119:120], v[123:124], s[16:17], -v[119:120]
	;; [unrolled: 1-line block ×4, first 2 shown]
	v_fma_f64 v[121:122], v[99:100], s[24:25], v[125:126]
	v_fma_f64 v[123:124], v[115:116], s[24:25], v[127:128]
	v_fma_f64 v[56:57], v[56:57], s[14:15], -v[125:126]
	v_fma_f64 v[58:59], v[58:59], s[14:15], -v[127:128]
	;; [unrolled: 1-line block ×4, first 2 shown]
	v_add_f64 v[125:126], v[72:73], v[80:81]
	v_add_f64 v[127:128], v[74:75], v[82:83]
	;; [unrolled: 1-line block ×6, first 2 shown]
	v_fma_f64 v[117:118], v[66:67], s[22:23], v[123:124]
	v_fma_f64 v[119:120], v[64:65], s[22:23], v[121:122]
	;; [unrolled: 1-line block ×6, first 2 shown]
	v_add_f64 v[56:57], v[76:77], -v[68:69]
	v_add_f64 v[58:59], v[70:71], v[78:79]
	v_add_f64 v[60:61], v[117:118], v[125:126]
	v_add_f64 v[62:63], v[127:128], -v[119:120]
	v_add_f64 v[64:65], v[115:116], v[80:81]
	v_add_f64 v[66:67], v[82:83], -v[99:100]
	v_add_f64 v[68:69], v[72:73], -v[121:122]
	v_add_f64 v[70:71], v[123:124], v[74:75]
	v_add_f64 v[72:73], v[121:122], v[72:73]
	v_add_f64 v[74:75], v[74:75], -v[123:124]
	v_add_f64 v[76:77], v[80:81], -v[115:116]
	v_add_f64 v[78:79], v[99:100], v[82:83]
	v_add_f64 v[80:81], v[125:126], -v[117:118]
	v_add_f64 v[82:83], v[119:120], v[127:128]
	ds_write_b128 v103, v[36:39]
	ds_write_b128 v103, v[32:35] offset:2304
	ds_write_b128 v103, v[40:43] offset:4608
	;; [unrolled: 1-line block ×6, first 2 shown]
	ds_write_b128 v108, v[28:31]
	ds_write_b128 v108, v[60:63] offset:2304
	ds_write_b128 v108, v[64:67] offset:4608
	;; [unrolled: 1-line block ×6, first 2 shown]
	s_and_saveexec_b64 s[28:29], vcc
	s_cbranch_execz .LBB0_17
; %bb.16:
	v_subrev_u32_e32 v28, 32, v86
	v_cndmask_b32_e32 v28, v28, v98, vcc
	v_mul_i32_i24_e32 v28, 6, v28
	v_mov_b32_e32 v29, 0
	v_lshlrev_b64 v[28:29], 4, v[28:29]
	v_mov_b32_e32 v30, s13
	v_add_co_u32_e32 v52, vcc, s12, v28
	v_addc_co_u32_e32 v53, vcc, v30, v29, vcc
	global_load_dwordx4 v[28:31], v[52:53], off offset:2320
	global_load_dwordx4 v[32:35], v[52:53], off offset:2304
	;; [unrolled: 1-line block ×6, first 2 shown]
	s_waitcnt vmcnt(5)
	v_mul_f64 v[52:53], v[18:19], v[30:31]
	s_waitcnt vmcnt(4)
	v_mul_f64 v[54:55], v[14:15], v[34:35]
	;; [unrolled: 2-line block ×6, first 2 shown]
	v_mul_f64 v[38:39], v[8:9], v[38:39]
	v_mul_f64 v[42:43], v[20:21], v[42:43]
	;; [unrolled: 1-line block ×6, first 2 shown]
	v_fma_f64 v[8:9], v[8:9], v[36:37], v[56:57]
	v_fma_f64 v[20:21], v[20:21], v[40:41], v[58:59]
	;; [unrolled: 1-line block ×4, first 2 shown]
	v_fma_f64 v[10:11], v[10:11], v[36:37], -v[38:39]
	v_fma_f64 v[22:23], v[22:23], v[40:41], -v[42:43]
	;; [unrolled: 1-line block ×4, first 2 shown]
	v_fma_f64 v[16:17], v[16:17], v[28:29], v[52:53]
	v_fma_f64 v[12:13], v[12:13], v[32:33], v[54:55]
	v_fma_f64 v[14:15], v[14:15], v[32:33], -v[34:35]
	v_fma_f64 v[18:19], v[18:19], v[28:29], -v[30:31]
	v_add_f64 v[30:31], v[8:9], -v[20:21]
	v_add_f64 v[32:33], v[4:5], -v[24:25]
	v_add_f64 v[36:37], v[10:11], v[22:23]
	v_add_f64 v[38:39], v[6:7], v[26:27]
	v_add_f64 v[8:9], v[8:9], v[20:21]
	v_add_f64 v[4:5], v[4:5], v[24:25]
	v_add_f64 v[28:29], v[16:17], -v[12:13]
	v_add_f64 v[34:35], v[14:15], v[18:19]
	v_add_f64 v[12:13], v[12:13], v[16:17]
	v_add_f64 v[14:15], v[18:19], -v[14:15]
	v_add_f64 v[10:11], v[10:11], -v[22:23]
	;; [unrolled: 1-line block ×3, first 2 shown]
	v_add_f64 v[26:27], v[36:37], v[38:39]
	v_add_f64 v[42:43], v[8:9], v[4:5]
	;; [unrolled: 1-line block ×3, first 2 shown]
	v_add_f64 v[18:19], v[28:29], -v[30:31]
	v_add_f64 v[20:21], v[32:33], -v[28:29]
	;; [unrolled: 1-line block ×6, first 2 shown]
	v_add_f64 v[26:27], v[34:35], v[26:27]
	v_add_f64 v[12:13], v[12:13], v[42:43]
	v_add_f64 v[30:31], v[30:31], -v[32:33]
	v_add_f64 v[4:5], v[8:9], -v[4:5]
	;; [unrolled: 1-line block ×4, first 2 shown]
	v_add_f64 v[44:45], v[14:15], v[10:11]
	v_add_f64 v[14:15], v[6:7], -v[14:15]
	v_add_f64 v[36:37], v[36:37], -v[38:39]
	v_add_f64 v[10:11], v[16:17], v[32:33]
	v_mul_f64 v[16:17], v[18:19], s[18:19]
	v_mul_f64 v[24:25], v[24:25], s[2:3]
	v_mul_f64 v[34:35], v[40:41], s[2:3]
	v_mul_f64 v[38:39], v[46:47], s[18:19]
	v_add_f64 v[2:3], v[2:3], v[26:27]
	v_add_f64 v[0:1], v[0:1], v[12:13]
	v_mul_f64 v[40:41], v[30:31], s[14:15]
	v_mul_f64 v[42:43], v[8:9], s[14:15]
	;; [unrolled: 1-line block ×4, first 2 shown]
	v_add_f64 v[6:7], v[44:45], v[6:7]
	v_fma_f64 v[44:45], v[20:21], s[24:25], v[16:17]
	v_fma_f64 v[22:23], v[22:23], s[6:7], v[24:25]
	;; [unrolled: 1-line block ×6, first 2 shown]
	v_fma_f64 v[20:21], v[20:21], s[26:27], -v[40:41]
	v_fma_f64 v[24:25], v[36:37], s[20:21], -v[24:25]
	;; [unrolled: 1-line block ×8, first 2 shown]
	v_fma_f64 v[30:31], v[10:11], s[22:23], v[44:45]
	v_fma_f64 v[32:33], v[6:7], s[22:23], v[46:47]
	v_add_f64 v[36:37], v[22:23], v[26:27]
	v_add_f64 v[28:29], v[28:29], v[12:13]
	v_fma_f64 v[20:21], v[10:11], s[22:23], v[20:21]
	v_add_f64 v[22:23], v[24:25], v[26:27]
	v_fma_f64 v[38:39], v[6:7], s[22:23], v[14:15]
	;; [unrolled: 2-line block ×4, first 2 shown]
	v_add_f64 v[4:5], v[4:5], v[12:13]
	v_add_f64 v[26:27], v[36:37], -v[30:31]
	v_add_f64 v[24:25], v[32:33], v[28:29]
	v_add_f64 v[10:11], v[20:21], v[22:23]
	v_add_f64 v[22:23], v[22:23], -v[20:21]
	v_add_f64 v[20:21], v[38:39], v[34:35]
	v_add_f64 v[14:15], v[18:19], -v[16:17]
	v_add_f64 v[18:19], v[16:17], v[18:19]
	v_add_f64 v[16:17], v[4:5], -v[8:9]
	v_add_f64 v[12:13], v[8:9], v[4:5]
	v_add_f64 v[8:9], v[34:35], -v[38:39]
	v_add_f64 v[6:7], v[30:31], v[36:37]
	v_add_f64 v[4:5], v[28:29], -v[32:33]
	ds_write_b128 v103, v[0:3] offset:1792
	ds_write_b128 v103, v[24:27] offset:4096
	;; [unrolled: 1-line block ×7, first 2 shown]
.LBB0_17:
	s_or_b64 exec, exec, s[28:29]
	s_waitcnt lgkmcnt(0)
	; wave barrier
	s_waitcnt lgkmcnt(0)
	ds_read_b128 v[4:7], v103
	s_add_u32 s6, s12, 0x3ee0
	s_addc_u32 s7, s13, 0
	v_sub_u32_e32 v12, 0, v87
	v_cmp_ne_u32_e32 vcc, 0, v86
                                        ; implicit-def: $vgpr0_vgpr1
                                        ; implicit-def: $vgpr8_vgpr9
                                        ; implicit-def: $vgpr10_vgpr11
	s_and_saveexec_b64 s[2:3], vcc
	s_xor_b64 s[2:3], exec, s[2:3]
	s_cbranch_execz .LBB0_19
; %bb.18:
	v_mov_b32_e32 v87, 0
	v_lshlrev_b64 v[0:1], 4, v[86:87]
	v_mov_b32_e32 v2, s7
	v_add_co_u32_e32 v0, vcc, s6, v0
	v_addc_co_u32_e32 v1, vcc, v2, v1, vcc
	global_load_dwordx4 v[13:16], v[0:1], off
	ds_read_b128 v[0:3], v12 offset:16128
	s_waitcnt lgkmcnt(0)
	v_add_f64 v[8:9], v[4:5], -v[0:1]
	v_add_f64 v[10:11], v[6:7], v[2:3]
	v_add_f64 v[2:3], v[6:7], -v[2:3]
	v_add_f64 v[0:1], v[4:5], v[0:1]
	v_mul_f64 v[6:7], v[8:9], 0.5
	v_mul_f64 v[4:5], v[10:11], 0.5
	;; [unrolled: 1-line block ×3, first 2 shown]
	s_waitcnt vmcnt(0)
	v_mul_f64 v[8:9], v[6:7], v[15:16]
	v_fma_f64 v[10:11], v[4:5], v[15:16], v[2:3]
	v_fma_f64 v[2:3], v[4:5], v[15:16], -v[2:3]
	v_fma_f64 v[17:18], v[0:1], 0.5, v[8:9]
	v_fma_f64 v[0:1], v[0:1], 0.5, -v[8:9]
	v_fma_f64 v[10:11], -v[13:14], v[6:7], v[10:11]
	v_fma_f64 v[2:3], -v[13:14], v[6:7], v[2:3]
	v_fma_f64 v[8:9], v[4:5], v[13:14], v[17:18]
	v_fma_f64 v[0:1], -v[4:5], v[13:14], v[0:1]
                                        ; implicit-def: $vgpr4_vgpr5
.LBB0_19:
	s_or_saveexec_b64 s[2:3], s[2:3]
	v_sub_u32_e32 v18, 0, v109
	v_sub_u32_e32 v17, 0, v110
	;; [unrolled: 1-line block ×6, first 2 shown]
	s_xor_b64 exec, exec, s[2:3]
	s_cbranch_execz .LBB0_21
; %bb.20:
	s_waitcnt lgkmcnt(0)
	v_add_f64 v[8:9], v[4:5], v[6:7]
	v_add_f64 v[0:1], v[4:5], -v[6:7]
	v_mov_b32_e32 v4, 0
	ds_read_b64 v[2:3], v4 offset:8072
	v_mov_b32_e32 v10, 0
	v_mov_b32_e32 v11, 0
	s_waitcnt lgkmcnt(0)
	v_xor_b32_e32 v3, 0x80000000, v3
	ds_write_b64 v4, v[2:3] offset:8072
	v_mov_b32_e32 v2, v10
	v_mov_b32_e32 v3, v11
.LBB0_21:
	s_or_b64 exec, exec, s[2:3]
	v_mov_b32_e32 v91, 0
	s_waitcnt lgkmcnt(0)
	v_lshlrev_b64 v[4:5], 4, v[90:91]
	v_mov_b32_e32 v6, s7
	v_add_co_u32_e32 v4, vcc, s6, v4
	v_addc_co_u32_e32 v5, vcc, v6, v5, vcc
	global_load_dwordx4 v[4:7], v[4:5], off
	v_mov_b32_e32 v99, v91
	v_lshlrev_b64 v[19:20], 4, v[98:99]
	v_mov_b32_e32 v21, s7
	v_add_co_u32_e32 v19, vcc, s6, v19
	v_addc_co_u32_e32 v20, vcc, v21, v20, vcc
	global_load_dwordx4 v[19:22], v[19:20], off
	ds_write2_b64 v103, v[8:9], v[10:11] offset1:1
	ds_write_b128 v12, v[0:3] offset:16128
	ds_read_b128 v[0:3], v108
	ds_read_b128 v[8:11], v12 offset:15232
	v_mov_b32_e32 v98, v91
	v_mov_b32_e32 v31, s7
	s_waitcnt lgkmcnt(0)
	v_add_f64 v[23:24], v[0:1], -v[8:9]
	v_add_f64 v[25:26], v[2:3], v[10:11]
	v_add_f64 v[2:3], v[2:3], -v[10:11]
	v_add_f64 v[0:1], v[0:1], v[8:9]
	v_mul_f64 v[10:11], v[23:24], 0.5
	v_mul_f64 v[23:24], v[25:26], 0.5
	;; [unrolled: 1-line block ×3, first 2 shown]
	v_lshlrev_b64 v[25:26], 4, v[97:98]
	v_mov_b32_e32 v97, v91
	s_waitcnt vmcnt(1)
	v_mul_f64 v[8:9], v[10:11], v[6:7]
	v_fma_f64 v[27:28], v[23:24], v[6:7], v[2:3]
	v_fma_f64 v[6:7], v[23:24], v[6:7], -v[2:3]
	v_fma_f64 v[29:30], v[0:1], 0.5, v[8:9]
	v_fma_f64 v[8:9], v[0:1], 0.5, -v[8:9]
	v_add_co_u32_e32 v0, vcc, s6, v25
	v_addc_co_u32_e32 v1, vcc, v31, v26, vcc
	global_load_dwordx4 v[0:3], v[0:1], off
	v_fma_f64 v[25:26], -v[4:5], v[10:11], v[27:28]
	v_fma_f64 v[6:7], -v[4:5], v[10:11], v[6:7]
	v_fma_f64 v[10:11], v[23:24], v[4:5], v[29:30]
	v_fma_f64 v[4:5], -v[23:24], v[4:5], v[8:9]
	ds_write2_b64 v108, v[10:11], v[25:26] offset1:1
	ds_write_b128 v12, v[4:7] offset:15232
	ds_read_b128 v[4:7], v114
	ds_read_b128 v[8:11], v12 offset:14336
	s_waitcnt lgkmcnt(0)
	v_add_f64 v[23:24], v[4:5], -v[8:9]
	v_add_f64 v[25:26], v[6:7], v[10:11]
	v_add_f64 v[6:7], v[6:7], -v[10:11]
	v_add_f64 v[4:5], v[4:5], v[8:9]
	v_mul_f64 v[10:11], v[23:24], 0.5
	v_mul_f64 v[23:24], v[25:26], 0.5
	;; [unrolled: 1-line block ×3, first 2 shown]
	v_lshlrev_b64 v[25:26], 4, v[96:97]
	v_mov_b32_e32 v96, v91
	s_waitcnt vmcnt(1)
	v_mul_f64 v[8:9], v[10:11], v[21:22]
	v_fma_f64 v[27:28], v[23:24], v[21:22], v[6:7]
	v_fma_f64 v[21:22], v[23:24], v[21:22], -v[6:7]
	v_fma_f64 v[29:30], v[4:5], 0.5, v[8:9]
	v_fma_f64 v[8:9], v[4:5], 0.5, -v[8:9]
	v_add_co_u32_e32 v4, vcc, s6, v25
	v_addc_co_u32_e32 v5, vcc, v31, v26, vcc
	global_load_dwordx4 v[4:7], v[4:5], off
	v_fma_f64 v[25:26], -v[19:20], v[10:11], v[27:28]
	v_fma_f64 v[10:11], -v[19:20], v[10:11], v[21:22]
	v_fma_f64 v[21:22], v[23:24], v[19:20], v[29:30]
	v_fma_f64 v[8:9], -v[23:24], v[19:20], v[8:9]
	v_add_u32_e32 v30, v107, v18
	ds_write_b64 v114, v[25:26] offset:8
	ds_write_b64 v12, v[10:11] offset:14344
	ds_write_b64 v114, v[21:22]
	ds_write_b64 v12, v[8:9] offset:14336
	ds_read_b128 v[8:11], v30
	ds_read_b128 v[18:21], v12 offset:13440
	s_waitcnt lgkmcnt(0)
	v_add_f64 v[22:23], v[8:9], -v[18:19]
	v_add_f64 v[24:25], v[10:11], v[20:21]
	v_add_f64 v[10:11], v[10:11], -v[20:21]
	v_add_f64 v[8:9], v[8:9], v[18:19]
	v_mul_f64 v[20:21], v[22:23], 0.5
	v_mul_f64 v[22:23], v[24:25], 0.5
	v_mul_f64 v[10:11], v[10:11], 0.5
	v_lshlrev_b64 v[24:25], 4, v[95:96]
	v_mov_b32_e32 v95, v91
	s_waitcnt vmcnt(1)
	v_mul_f64 v[18:19], v[20:21], v[2:3]
	v_fma_f64 v[26:27], v[22:23], v[2:3], v[10:11]
	v_fma_f64 v[2:3], v[22:23], v[2:3], -v[10:11]
	v_fma_f64 v[28:29], v[8:9], 0.5, v[18:19]
	v_fma_f64 v[18:19], v[8:9], 0.5, -v[18:19]
	v_add_co_u32_e32 v8, vcc, s6, v24
	v_addc_co_u32_e32 v9, vcc, v31, v25, vcc
	global_load_dwordx4 v[8:11], v[8:9], off
	v_fma_f64 v[24:25], -v[0:1], v[20:21], v[26:27]
	v_fma_f64 v[2:3], -v[0:1], v[20:21], v[2:3]
	v_fma_f64 v[20:21], v[22:23], v[0:1], v[28:29]
	v_fma_f64 v[0:1], -v[22:23], v[0:1], v[18:19]
	v_add_u32_e32 v29, v106, v17
	ds_write_b64 v30, v[24:25] offset:8
	ds_write_b64 v12, v[2:3] offset:13448
	ds_write_b64 v30, v[20:21]
	ds_write_b64 v12, v[0:1] offset:13440
	ds_read_b128 v[0:3], v29
	ds_read_b128 v[17:20], v12 offset:12544
	v_mov_b32_e32 v30, s7
	s_waitcnt lgkmcnt(0)
	v_add_f64 v[21:22], v[0:1], -v[17:18]
	v_add_f64 v[23:24], v[2:3], v[19:20]
	v_add_f64 v[2:3], v[2:3], -v[19:20]
	v_add_f64 v[0:1], v[0:1], v[17:18]
	v_mul_f64 v[19:20], v[21:22], 0.5
	v_mul_f64 v[21:22], v[23:24], 0.5
	v_mul_f64 v[2:3], v[2:3], 0.5
	v_lshlrev_b64 v[23:24], 4, v[94:95]
	v_mov_b32_e32 v94, v91
	s_waitcnt vmcnt(1)
	v_mul_f64 v[17:18], v[19:20], v[6:7]
	v_fma_f64 v[25:26], v[21:22], v[6:7], v[2:3]
	v_fma_f64 v[6:7], v[21:22], v[6:7], -v[2:3]
	v_fma_f64 v[27:28], v[0:1], 0.5, v[17:18]
	v_fma_f64 v[17:18], v[0:1], 0.5, -v[17:18]
	v_add_co_u32_e32 v0, vcc, s6, v23
	v_addc_co_u32_e32 v1, vcc, v30, v24, vcc
	global_load_dwordx4 v[0:3], v[0:1], off
	v_fma_f64 v[23:24], -v[4:5], v[19:20], v[25:26]
	v_fma_f64 v[6:7], -v[4:5], v[19:20], v[6:7]
	v_fma_f64 v[19:20], v[21:22], v[4:5], v[27:28]
	v_fma_f64 v[4:5], -v[21:22], v[4:5], v[17:18]
	v_add_u32_e32 v28, v105, v16
	ds_write_b64 v29, v[23:24] offset:8
	ds_write_b64 v12, v[6:7] offset:12552
	ds_write_b64 v29, v[19:20]
	ds_write_b64 v12, v[4:5] offset:12544
	ds_read_b128 v[4:7], v28
	ds_read_b128 v[16:19], v12 offset:11648
	v_mov_b32_e32 v29, s7
	;; [unrolled: 31-line block ×3, first 2 shown]
	s_waitcnt lgkmcnt(0)
	v_add_f64 v[19:20], v[8:9], -v[15:16]
	v_add_f64 v[21:22], v[10:11], v[17:18]
	v_add_f64 v[10:11], v[10:11], -v[17:18]
	v_add_f64 v[8:9], v[8:9], v[15:16]
	v_mul_f64 v[17:18], v[19:20], 0.5
	v_mul_f64 v[19:20], v[21:22], 0.5
	;; [unrolled: 1-line block ×3, first 2 shown]
	v_lshlrev_b64 v[21:22], 4, v[92:93]
	s_waitcnt vmcnt(1)
	v_mul_f64 v[15:16], v[17:18], v[2:3]
	v_fma_f64 v[23:24], v[19:20], v[2:3], v[10:11]
	v_fma_f64 v[2:3], v[19:20], v[2:3], -v[10:11]
	v_fma_f64 v[25:26], v[8:9], 0.5, v[15:16]
	v_fma_f64 v[15:16], v[8:9], 0.5, -v[15:16]
	v_add_co_u32_e32 v8, vcc, s6, v21
	v_addc_co_u32_e32 v9, vcc, v28, v22, vcc
	global_load_dwordx4 v[8:11], v[8:9], off
	v_fma_f64 v[21:22], -v[0:1], v[17:18], v[23:24]
	v_fma_f64 v[2:3], -v[0:1], v[17:18], v[2:3]
	v_fma_f64 v[17:18], v[19:20], v[0:1], v[25:26]
	v_fma_f64 v[0:1], -v[19:20], v[0:1], v[15:16]
	v_add_u32_e32 v23, v102, v14
	ds_write_b64 v27, v[21:22] offset:8
	ds_write_b64 v12, v[2:3] offset:10760
	ds_write_b64 v27, v[17:18]
	ds_write_b64 v12, v[0:1] offset:10752
	ds_read_b128 v[0:3], v23
	ds_read_b128 v[14:17], v12 offset:9856
	s_waitcnt lgkmcnt(0)
	v_add_f64 v[18:19], v[0:1], -v[14:15]
	v_add_f64 v[20:21], v[2:3], v[16:17]
	v_add_f64 v[2:3], v[2:3], -v[16:17]
	v_add_f64 v[0:1], v[0:1], v[14:15]
	v_mul_f64 v[16:17], v[18:19], 0.5
	v_mul_f64 v[18:19], v[20:21], 0.5
	;; [unrolled: 1-line block ×3, first 2 shown]
	s_waitcnt vmcnt(1)
	v_mul_f64 v[14:15], v[16:17], v[6:7]
	v_fma_f64 v[20:21], v[18:19], v[6:7], v[2:3]
	v_fma_f64 v[2:3], v[18:19], v[6:7], -v[2:3]
	v_fma_f64 v[6:7], v[0:1], 0.5, v[14:15]
	v_fma_f64 v[0:1], v[0:1], 0.5, -v[14:15]
	v_fma_f64 v[14:15], -v[4:5], v[16:17], v[20:21]
	v_fma_f64 v[2:3], -v[4:5], v[16:17], v[2:3]
	v_add_u32_e32 v17, v101, v13
	v_fma_f64 v[6:7], v[18:19], v[4:5], v[6:7]
	v_fma_f64 v[0:1], -v[18:19], v[4:5], v[0:1]
	ds_write_b64 v23, v[14:15] offset:8
	ds_write_b64 v12, v[2:3] offset:9864
	ds_write_b64 v23, v[6:7]
	ds_write_b64 v12, v[0:1] offset:9856
	ds_read_b128 v[0:3], v17
	ds_read_b128 v[4:7], v12 offset:8960
	s_waitcnt lgkmcnt(0)
	v_add_f64 v[13:14], v[0:1], -v[4:5]
	v_add_f64 v[15:16], v[2:3], v[6:7]
	v_add_f64 v[2:3], v[2:3], -v[6:7]
	v_add_f64 v[0:1], v[0:1], v[4:5]
	v_mul_f64 v[6:7], v[13:14], 0.5
	v_mul_f64 v[13:14], v[15:16], 0.5
	;; [unrolled: 1-line block ×3, first 2 shown]
	s_waitcnt vmcnt(0)
	v_mul_f64 v[4:5], v[6:7], v[10:11]
	v_fma_f64 v[15:16], v[13:14], v[10:11], v[2:3]
	v_fma_f64 v[2:3], v[13:14], v[10:11], -v[2:3]
	v_fma_f64 v[10:11], v[0:1], 0.5, v[4:5]
	v_fma_f64 v[0:1], v[0:1], 0.5, -v[4:5]
	v_fma_f64 v[4:5], -v[8:9], v[6:7], v[15:16]
	v_fma_f64 v[2:3], -v[8:9], v[6:7], v[2:3]
	v_fma_f64 v[6:7], v[13:14], v[8:9], v[10:11]
	v_fma_f64 v[0:1], -v[13:14], v[8:9], v[0:1]
	ds_write_b64 v17, v[4:5] offset:8
	ds_write_b64 v12, v[2:3] offset:8968
	ds_write_b64 v17, v[6:7]
	ds_write_b64 v12, v[0:1] offset:8960
	s_waitcnt lgkmcnt(0)
	; wave barrier
	s_waitcnt lgkmcnt(0)
	s_and_saveexec_b64 s[2:3], s[0:1]
	s_cbranch_execz .LBB0_24
; %bb.22:
	v_mul_lo_u32 v2, s5, v88
	v_mul_lo_u32 v3, s4, v89
	v_mad_u64_u32 v[0:1], s[0:1], s4, v88, 0
	v_mov_b32_e32 v6, s11
	v_lshl_add_u32 v12, v86, 4, 0
	v_add3_u32 v1, v1, v3, v2
	v_lshlrev_b64 v[0:1], 4, v[0:1]
	v_mov_b32_e32 v87, v91
	v_add_co_u32_e32 v0, vcc, s10, v0
	v_addc_co_u32_e32 v8, vcc, v6, v1, vcc
	v_lshlrev_b64 v[6:7], 4, v[84:85]
	ds_read_b128 v[2:5], v12
	v_add_co_u32_e32 v1, vcc, v0, v6
	v_addc_co_u32_e32 v0, vcc, v8, v7, vcc
	v_lshlrev_b64 v[6:7], 4, v[86:87]
	v_add_u32_e32 v90, 56, v86
	v_add_co_u32_e32 v10, vcc, v1, v6
	v_addc_co_u32_e32 v11, vcc, v0, v7, vcc
	ds_read_b128 v[6:9], v12 offset:896
	s_waitcnt lgkmcnt(1)
	global_store_dwordx4 v[10:11], v[2:5], off
	s_nop 0
	v_lshlrev_b64 v[2:3], 4, v[90:91]
	v_add_u32_e32 v90, 0x70, v86
	v_add_co_u32_e32 v2, vcc, v1, v2
	v_addc_co_u32_e32 v3, vcc, v0, v3, vcc
	s_waitcnt lgkmcnt(0)
	global_store_dwordx4 v[2:3], v[6:9], off
	ds_read_b128 v[2:5], v12 offset:1792
	v_lshlrev_b64 v[6:7], 4, v[90:91]
	v_add_u32_e32 v90, 0xa8, v86
	v_add_co_u32_e32 v10, vcc, v1, v6
	v_addc_co_u32_e32 v11, vcc, v0, v7, vcc
	ds_read_b128 v[6:9], v12 offset:2688
	s_waitcnt lgkmcnt(1)
	global_store_dwordx4 v[10:11], v[2:5], off
	s_nop 0
	v_lshlrev_b64 v[2:3], 4, v[90:91]
	v_add_u32_e32 v90, 0xe0, v86
	v_add_co_u32_e32 v2, vcc, v1, v2
	v_addc_co_u32_e32 v3, vcc, v0, v3, vcc
	s_waitcnt lgkmcnt(0)
	global_store_dwordx4 v[2:3], v[6:9], off
	ds_read_b128 v[2:5], v12 offset:3584
	;; [unrolled: 15-line block ×8, first 2 shown]
	v_lshlrev_b64 v[6:7], 4, v[90:91]
	v_add_u32_e32 v90, 0x3b8, v86
	v_add_co_u32_e32 v10, vcc, v1, v6
	v_addc_co_u32_e32 v11, vcc, v0, v7, vcc
	ds_read_b128 v[6:9], v12 offset:15232
	s_waitcnt lgkmcnt(1)
	global_store_dwordx4 v[10:11], v[2:5], off
	s_nop 0
	v_lshlrev_b64 v[2:3], 4, v[90:91]
	v_add_co_u32_e32 v2, vcc, v1, v2
	v_addc_co_u32_e32 v3, vcc, v0, v3, vcc
	v_cmp_eq_u32_e32 vcc, 55, v86
	s_waitcnt lgkmcnt(0)
	global_store_dwordx4 v[2:3], v[6:9], off
	s_and_b64 exec, exec, vcc
	s_cbranch_execz .LBB0_24
; %bb.23:
	v_mov_b32_e32 v2, 0
	ds_read_b128 v[2:5], v2 offset:16128
	v_add_co_u32_e32 v6, vcc, 0x3000, v1
	v_addc_co_u32_e32 v7, vcc, 0, v0, vcc
	s_waitcnt lgkmcnt(0)
	global_store_dwordx4 v[6:7], v[2:5], off offset:3840
.LBB0_24:
	s_endpgm
	.section	.rodata,"a",@progbits
	.p2align	6, 0x0
	.amdhsa_kernel fft_rtc_back_len1008_factors_2_2_2_2_3_3_7_wgs_56_tpt_56_halfLds_dp_op_CI_CI_unitstride_sbrr_R2C_dirReg
		.amdhsa_group_segment_fixed_size 0
		.amdhsa_private_segment_fixed_size 0
		.amdhsa_kernarg_size 104
		.amdhsa_user_sgpr_count 6
		.amdhsa_user_sgpr_private_segment_buffer 1
		.amdhsa_user_sgpr_dispatch_ptr 0
		.amdhsa_user_sgpr_queue_ptr 0
		.amdhsa_user_sgpr_kernarg_segment_ptr 1
		.amdhsa_user_sgpr_dispatch_id 0
		.amdhsa_user_sgpr_flat_scratch_init 0
		.amdhsa_user_sgpr_private_segment_size 0
		.amdhsa_uses_dynamic_stack 0
		.amdhsa_system_sgpr_private_segment_wavefront_offset 0
		.amdhsa_system_sgpr_workgroup_id_x 1
		.amdhsa_system_sgpr_workgroup_id_y 0
		.amdhsa_system_sgpr_workgroup_id_z 0
		.amdhsa_system_sgpr_workgroup_info 0
		.amdhsa_system_vgpr_workitem_id 0
		.amdhsa_next_free_vgpr 185
		.amdhsa_next_free_sgpr 30
		.amdhsa_reserve_vcc 1
		.amdhsa_reserve_flat_scratch 0
		.amdhsa_float_round_mode_32 0
		.amdhsa_float_round_mode_16_64 0
		.amdhsa_float_denorm_mode_32 3
		.amdhsa_float_denorm_mode_16_64 3
		.amdhsa_dx10_clamp 1
		.amdhsa_ieee_mode 1
		.amdhsa_fp16_overflow 0
		.amdhsa_exception_fp_ieee_invalid_op 0
		.amdhsa_exception_fp_denorm_src 0
		.amdhsa_exception_fp_ieee_div_zero 0
		.amdhsa_exception_fp_ieee_overflow 0
		.amdhsa_exception_fp_ieee_underflow 0
		.amdhsa_exception_fp_ieee_inexact 0
		.amdhsa_exception_int_div_zero 0
	.end_amdhsa_kernel
	.text
.Lfunc_end0:
	.size	fft_rtc_back_len1008_factors_2_2_2_2_3_3_7_wgs_56_tpt_56_halfLds_dp_op_CI_CI_unitstride_sbrr_R2C_dirReg, .Lfunc_end0-fft_rtc_back_len1008_factors_2_2_2_2_3_3_7_wgs_56_tpt_56_halfLds_dp_op_CI_CI_unitstride_sbrr_R2C_dirReg
                                        ; -- End function
	.section	.AMDGPU.csdata,"",@progbits
; Kernel info:
; codeLenInByte = 15792
; NumSgprs: 34
; NumVgprs: 185
; ScratchSize: 0
; MemoryBound: 0
; FloatMode: 240
; IeeeMode: 1
; LDSByteSize: 0 bytes/workgroup (compile time only)
; SGPRBlocks: 4
; VGPRBlocks: 46
; NumSGPRsForWavesPerEU: 34
; NumVGPRsForWavesPerEU: 185
; Occupancy: 1
; WaveLimiterHint : 1
; COMPUTE_PGM_RSRC2:SCRATCH_EN: 0
; COMPUTE_PGM_RSRC2:USER_SGPR: 6
; COMPUTE_PGM_RSRC2:TRAP_HANDLER: 0
; COMPUTE_PGM_RSRC2:TGID_X_EN: 1
; COMPUTE_PGM_RSRC2:TGID_Y_EN: 0
; COMPUTE_PGM_RSRC2:TGID_Z_EN: 0
; COMPUTE_PGM_RSRC2:TIDIG_COMP_CNT: 0
	.type	__hip_cuid_e4abd75503445e05,@object ; @__hip_cuid_e4abd75503445e05
	.section	.bss,"aw",@nobits
	.globl	__hip_cuid_e4abd75503445e05
__hip_cuid_e4abd75503445e05:
	.byte	0                               ; 0x0
	.size	__hip_cuid_e4abd75503445e05, 1

	.ident	"AMD clang version 19.0.0git (https://github.com/RadeonOpenCompute/llvm-project roc-6.4.0 25133 c7fe45cf4b819c5991fe208aaa96edf142730f1d)"
	.section	".note.GNU-stack","",@progbits
	.addrsig
	.addrsig_sym __hip_cuid_e4abd75503445e05
	.amdgpu_metadata
---
amdhsa.kernels:
  - .args:
      - .actual_access:  read_only
        .address_space:  global
        .offset:         0
        .size:           8
        .value_kind:     global_buffer
      - .offset:         8
        .size:           8
        .value_kind:     by_value
      - .actual_access:  read_only
        .address_space:  global
        .offset:         16
        .size:           8
        .value_kind:     global_buffer
      - .actual_access:  read_only
        .address_space:  global
        .offset:         24
        .size:           8
        .value_kind:     global_buffer
      - .actual_access:  read_only
        .address_space:  global
        .offset:         32
        .size:           8
        .value_kind:     global_buffer
      - .offset:         40
        .size:           8
        .value_kind:     by_value
      - .actual_access:  read_only
        .address_space:  global
        .offset:         48
        .size:           8
        .value_kind:     global_buffer
      - .actual_access:  read_only
        .address_space:  global
        .offset:         56
        .size:           8
        .value_kind:     global_buffer
      - .offset:         64
        .size:           4
        .value_kind:     by_value
      - .actual_access:  read_only
        .address_space:  global
        .offset:         72
        .size:           8
        .value_kind:     global_buffer
      - .actual_access:  read_only
        .address_space:  global
        .offset:         80
        .size:           8
        .value_kind:     global_buffer
      - .actual_access:  read_only
        .address_space:  global
        .offset:         88
        .size:           8
        .value_kind:     global_buffer
      - .actual_access:  write_only
        .address_space:  global
        .offset:         96
        .size:           8
        .value_kind:     global_buffer
    .group_segment_fixed_size: 0
    .kernarg_segment_align: 8
    .kernarg_segment_size: 104
    .language:       OpenCL C
    .language_version:
      - 2
      - 0
    .max_flat_workgroup_size: 56
    .name:           fft_rtc_back_len1008_factors_2_2_2_2_3_3_7_wgs_56_tpt_56_halfLds_dp_op_CI_CI_unitstride_sbrr_R2C_dirReg
    .private_segment_fixed_size: 0
    .sgpr_count:     34
    .sgpr_spill_count: 0
    .symbol:         fft_rtc_back_len1008_factors_2_2_2_2_3_3_7_wgs_56_tpt_56_halfLds_dp_op_CI_CI_unitstride_sbrr_R2C_dirReg.kd
    .uniform_work_group_size: 1
    .uses_dynamic_stack: false
    .vgpr_count:     185
    .vgpr_spill_count: 0
    .wavefront_size: 64
amdhsa.target:   amdgcn-amd-amdhsa--gfx906
amdhsa.version:
  - 1
  - 2
...

	.end_amdgpu_metadata
